;; amdgpu-corpus repo=ROCm/rocFFT kind=compiled arch=gfx1100 opt=O3
	.text
	.amdgcn_target "amdgcn-amd-amdhsa--gfx1100"
	.amdhsa_code_object_version 6
	.protected	fft_rtc_back_len1430_factors_13_11_10_wgs_143_tpt_143_dp_op_CI_CI_unitstride_sbrr_R2C_dirReg ; -- Begin function fft_rtc_back_len1430_factors_13_11_10_wgs_143_tpt_143_dp_op_CI_CI_unitstride_sbrr_R2C_dirReg
	.globl	fft_rtc_back_len1430_factors_13_11_10_wgs_143_tpt_143_dp_op_CI_CI_unitstride_sbrr_R2C_dirReg
	.p2align	8
	.type	fft_rtc_back_len1430_factors_13_11_10_wgs_143_tpt_143_dp_op_CI_CI_unitstride_sbrr_R2C_dirReg,@function
fft_rtc_back_len1430_factors_13_11_10_wgs_143_tpt_143_dp_op_CI_CI_unitstride_sbrr_R2C_dirReg: ; @fft_rtc_back_len1430_factors_13_11_10_wgs_143_tpt_143_dp_op_CI_CI_unitstride_sbrr_R2C_dirReg
; %bb.0:
	s_clause 0x2
	s_load_b128 s[8:11], s[0:1], 0x0
	s_load_b128 s[4:7], s[0:1], 0x58
	;; [unrolled: 1-line block ×3, first 2 shown]
	v_mul_u32_u24_e32 v1, 0x1cb, v0
	v_mov_b32_e32 v3, 0
	s_delay_alu instid0(VALU_DEP_2) | instskip(NEXT) | instid1(VALU_DEP_1)
	v_lshrrev_b32_e32 v1, 16, v1
	v_add_nc_u32_e32 v5, s15, v1
	v_mov_b32_e32 v1, 0
	v_mov_b32_e32 v2, 0
	;; [unrolled: 1-line block ×3, first 2 shown]
	s_waitcnt lgkmcnt(0)
	v_cmp_lt_u64_e64 s2, s[10:11], 2
	s_delay_alu instid0(VALU_DEP_1)
	s_and_b32 vcc_lo, exec_lo, s2
	s_cbranch_vccnz .LBB0_8
; %bb.1:
	s_load_b64 s[2:3], s[0:1], 0x10
	v_mov_b32_e32 v1, 0
	v_mov_b32_e32 v2, 0
	s_add_u32 s12, s18, 8
	s_addc_u32 s13, s19, 0
	s_add_u32 s14, s16, 8
	s_addc_u32 s15, s17, 0
	v_dual_mov_b32 v49, v2 :: v_dual_mov_b32 v48, v1
	s_mov_b64 s[22:23], 1
	s_waitcnt lgkmcnt(0)
	s_add_u32 s20, s2, 8
	s_addc_u32 s21, s3, 0
.LBB0_2:                                ; =>This Inner Loop Header: Depth=1
	s_load_b64 s[24:25], s[20:21], 0x0
                                        ; implicit-def: $vgpr52_vgpr53
	s_mov_b32 s2, exec_lo
	s_waitcnt lgkmcnt(0)
	v_or_b32_e32 v4, s25, v6
	s_delay_alu instid0(VALU_DEP_1)
	v_cmpx_ne_u64_e32 0, v[3:4]
	s_xor_b32 s3, exec_lo, s2
	s_cbranch_execz .LBB0_4
; %bb.3:                                ;   in Loop: Header=BB0_2 Depth=1
	v_cvt_f32_u32_e32 v4, s24
	v_cvt_f32_u32_e32 v7, s25
	s_sub_u32 s2, 0, s24
	s_subb_u32 s26, 0, s25
	s_delay_alu instid0(VALU_DEP_1) | instskip(NEXT) | instid1(VALU_DEP_1)
	v_fmac_f32_e32 v4, 0x4f800000, v7
	v_rcp_f32_e32 v4, v4
	s_waitcnt_depctr 0xfff
	v_mul_f32_e32 v4, 0x5f7ffffc, v4
	s_delay_alu instid0(VALU_DEP_1) | instskip(NEXT) | instid1(VALU_DEP_1)
	v_mul_f32_e32 v7, 0x2f800000, v4
	v_trunc_f32_e32 v7, v7
	s_delay_alu instid0(VALU_DEP_1) | instskip(SKIP_1) | instid1(VALU_DEP_2)
	v_fmac_f32_e32 v4, 0xcf800000, v7
	v_cvt_u32_f32_e32 v7, v7
	v_cvt_u32_f32_e32 v4, v4
	s_delay_alu instid0(VALU_DEP_2) | instskip(NEXT) | instid1(VALU_DEP_2)
	v_mul_lo_u32 v8, s2, v7
	v_mul_hi_u32 v9, s2, v4
	v_mul_lo_u32 v10, s26, v4
	s_delay_alu instid0(VALU_DEP_2) | instskip(SKIP_1) | instid1(VALU_DEP_2)
	v_add_nc_u32_e32 v8, v9, v8
	v_mul_lo_u32 v9, s2, v4
	v_add_nc_u32_e32 v8, v8, v10
	s_delay_alu instid0(VALU_DEP_2) | instskip(NEXT) | instid1(VALU_DEP_2)
	v_mul_hi_u32 v10, v4, v9
	v_mul_lo_u32 v11, v4, v8
	v_mul_hi_u32 v12, v4, v8
	v_mul_hi_u32 v13, v7, v9
	v_mul_lo_u32 v9, v7, v9
	v_mul_hi_u32 v14, v7, v8
	v_mul_lo_u32 v8, v7, v8
	v_add_co_u32 v10, vcc_lo, v10, v11
	v_add_co_ci_u32_e32 v11, vcc_lo, 0, v12, vcc_lo
	s_delay_alu instid0(VALU_DEP_2) | instskip(NEXT) | instid1(VALU_DEP_2)
	v_add_co_u32 v9, vcc_lo, v10, v9
	v_add_co_ci_u32_e32 v9, vcc_lo, v11, v13, vcc_lo
	v_add_co_ci_u32_e32 v10, vcc_lo, 0, v14, vcc_lo
	s_delay_alu instid0(VALU_DEP_2) | instskip(NEXT) | instid1(VALU_DEP_2)
	v_add_co_u32 v8, vcc_lo, v9, v8
	v_add_co_ci_u32_e32 v9, vcc_lo, 0, v10, vcc_lo
	s_delay_alu instid0(VALU_DEP_2) | instskip(NEXT) | instid1(VALU_DEP_2)
	v_add_co_u32 v4, vcc_lo, v4, v8
	v_add_co_ci_u32_e32 v7, vcc_lo, v7, v9, vcc_lo
	s_delay_alu instid0(VALU_DEP_2) | instskip(SKIP_1) | instid1(VALU_DEP_3)
	v_mul_hi_u32 v8, s2, v4
	v_mul_lo_u32 v10, s26, v4
	v_mul_lo_u32 v9, s2, v7
	s_delay_alu instid0(VALU_DEP_1) | instskip(SKIP_1) | instid1(VALU_DEP_2)
	v_add_nc_u32_e32 v8, v8, v9
	v_mul_lo_u32 v9, s2, v4
	v_add_nc_u32_e32 v8, v8, v10
	s_delay_alu instid0(VALU_DEP_2) | instskip(NEXT) | instid1(VALU_DEP_2)
	v_mul_hi_u32 v10, v4, v9
	v_mul_lo_u32 v11, v4, v8
	v_mul_hi_u32 v12, v4, v8
	v_mul_hi_u32 v13, v7, v9
	v_mul_lo_u32 v9, v7, v9
	v_mul_hi_u32 v14, v7, v8
	v_mul_lo_u32 v8, v7, v8
	v_add_co_u32 v10, vcc_lo, v10, v11
	v_add_co_ci_u32_e32 v11, vcc_lo, 0, v12, vcc_lo
	s_delay_alu instid0(VALU_DEP_2) | instskip(NEXT) | instid1(VALU_DEP_2)
	v_add_co_u32 v9, vcc_lo, v10, v9
	v_add_co_ci_u32_e32 v9, vcc_lo, v11, v13, vcc_lo
	v_add_co_ci_u32_e32 v10, vcc_lo, 0, v14, vcc_lo
	s_delay_alu instid0(VALU_DEP_2) | instskip(NEXT) | instid1(VALU_DEP_2)
	v_add_co_u32 v8, vcc_lo, v9, v8
	v_add_co_ci_u32_e32 v9, vcc_lo, 0, v10, vcc_lo
	s_delay_alu instid0(VALU_DEP_2) | instskip(NEXT) | instid1(VALU_DEP_2)
	v_add_co_u32 v4, vcc_lo, v4, v8
	v_add_co_ci_u32_e32 v13, vcc_lo, v7, v9, vcc_lo
	s_delay_alu instid0(VALU_DEP_2) | instskip(SKIP_1) | instid1(VALU_DEP_3)
	v_mul_hi_u32 v14, v5, v4
	v_mad_u64_u32 v[9:10], null, v6, v4, 0
	v_mad_u64_u32 v[7:8], null, v5, v13, 0
	;; [unrolled: 1-line block ×3, first 2 shown]
	s_delay_alu instid0(VALU_DEP_2) | instskip(NEXT) | instid1(VALU_DEP_3)
	v_add_co_u32 v4, vcc_lo, v14, v7
	v_add_co_ci_u32_e32 v7, vcc_lo, 0, v8, vcc_lo
	s_delay_alu instid0(VALU_DEP_2) | instskip(NEXT) | instid1(VALU_DEP_2)
	v_add_co_u32 v4, vcc_lo, v4, v9
	v_add_co_ci_u32_e32 v4, vcc_lo, v7, v10, vcc_lo
	v_add_co_ci_u32_e32 v7, vcc_lo, 0, v12, vcc_lo
	s_delay_alu instid0(VALU_DEP_2) | instskip(NEXT) | instid1(VALU_DEP_2)
	v_add_co_u32 v4, vcc_lo, v4, v11
	v_add_co_ci_u32_e32 v9, vcc_lo, 0, v7, vcc_lo
	s_delay_alu instid0(VALU_DEP_2) | instskip(SKIP_1) | instid1(VALU_DEP_3)
	v_mul_lo_u32 v10, s25, v4
	v_mad_u64_u32 v[7:8], null, s24, v4, 0
	v_mul_lo_u32 v11, s24, v9
	s_delay_alu instid0(VALU_DEP_2) | instskip(NEXT) | instid1(VALU_DEP_2)
	v_sub_co_u32 v7, vcc_lo, v5, v7
	v_add3_u32 v8, v8, v11, v10
	s_delay_alu instid0(VALU_DEP_1) | instskip(NEXT) | instid1(VALU_DEP_1)
	v_sub_nc_u32_e32 v10, v6, v8
	v_subrev_co_ci_u32_e64 v10, s2, s25, v10, vcc_lo
	v_add_co_u32 v11, s2, v4, 2
	s_delay_alu instid0(VALU_DEP_1) | instskip(SKIP_3) | instid1(VALU_DEP_3)
	v_add_co_ci_u32_e64 v12, s2, 0, v9, s2
	v_sub_co_u32 v13, s2, v7, s24
	v_sub_co_ci_u32_e32 v8, vcc_lo, v6, v8, vcc_lo
	v_subrev_co_ci_u32_e64 v10, s2, 0, v10, s2
	v_cmp_le_u32_e32 vcc_lo, s24, v13
	s_delay_alu instid0(VALU_DEP_3) | instskip(SKIP_1) | instid1(VALU_DEP_4)
	v_cmp_eq_u32_e64 s2, s25, v8
	v_cndmask_b32_e64 v13, 0, -1, vcc_lo
	v_cmp_le_u32_e32 vcc_lo, s25, v10
	v_cndmask_b32_e64 v14, 0, -1, vcc_lo
	v_cmp_le_u32_e32 vcc_lo, s24, v7
	;; [unrolled: 2-line block ×3, first 2 shown]
	v_cndmask_b32_e64 v15, 0, -1, vcc_lo
	v_cmp_eq_u32_e32 vcc_lo, s25, v10
	s_delay_alu instid0(VALU_DEP_2) | instskip(SKIP_3) | instid1(VALU_DEP_3)
	v_cndmask_b32_e64 v7, v15, v7, s2
	v_cndmask_b32_e32 v10, v14, v13, vcc_lo
	v_add_co_u32 v13, vcc_lo, v4, 1
	v_add_co_ci_u32_e32 v14, vcc_lo, 0, v9, vcc_lo
	v_cmp_ne_u32_e32 vcc_lo, 0, v10
	s_delay_alu instid0(VALU_DEP_2) | instskip(NEXT) | instid1(VALU_DEP_4)
	v_cndmask_b32_e32 v8, v14, v12, vcc_lo
	v_cndmask_b32_e32 v10, v13, v11, vcc_lo
	v_cmp_ne_u32_e32 vcc_lo, 0, v7
	s_delay_alu instid0(VALU_DEP_2)
	v_dual_cndmask_b32 v53, v9, v8 :: v_dual_cndmask_b32 v52, v4, v10
.LBB0_4:                                ;   in Loop: Header=BB0_2 Depth=1
	s_and_not1_saveexec_b32 s2, s3
	s_cbranch_execz .LBB0_6
; %bb.5:                                ;   in Loop: Header=BB0_2 Depth=1
	v_cvt_f32_u32_e32 v4, s24
	s_sub_i32 s3, 0, s24
	v_mov_b32_e32 v53, v3
	s_delay_alu instid0(VALU_DEP_2) | instskip(SKIP_2) | instid1(VALU_DEP_1)
	v_rcp_iflag_f32_e32 v4, v4
	s_waitcnt_depctr 0xfff
	v_mul_f32_e32 v4, 0x4f7ffffe, v4
	v_cvt_u32_f32_e32 v4, v4
	s_delay_alu instid0(VALU_DEP_1) | instskip(NEXT) | instid1(VALU_DEP_1)
	v_mul_lo_u32 v7, s3, v4
	v_mul_hi_u32 v7, v4, v7
	s_delay_alu instid0(VALU_DEP_1) | instskip(NEXT) | instid1(VALU_DEP_1)
	v_add_nc_u32_e32 v4, v4, v7
	v_mul_hi_u32 v4, v5, v4
	s_delay_alu instid0(VALU_DEP_1) | instskip(SKIP_1) | instid1(VALU_DEP_2)
	v_mul_lo_u32 v7, v4, s24
	v_add_nc_u32_e32 v8, 1, v4
	v_sub_nc_u32_e32 v7, v5, v7
	s_delay_alu instid0(VALU_DEP_1) | instskip(SKIP_1) | instid1(VALU_DEP_2)
	v_subrev_nc_u32_e32 v9, s24, v7
	v_cmp_le_u32_e32 vcc_lo, s24, v7
	v_dual_cndmask_b32 v7, v7, v9 :: v_dual_cndmask_b32 v4, v4, v8
	s_delay_alu instid0(VALU_DEP_1) | instskip(NEXT) | instid1(VALU_DEP_2)
	v_cmp_le_u32_e32 vcc_lo, s24, v7
	v_add_nc_u32_e32 v8, 1, v4
	s_delay_alu instid0(VALU_DEP_1)
	v_cndmask_b32_e32 v52, v4, v8, vcc_lo
.LBB0_6:                                ;   in Loop: Header=BB0_2 Depth=1
	s_or_b32 exec_lo, exec_lo, s2
	s_delay_alu instid0(VALU_DEP_1) | instskip(NEXT) | instid1(VALU_DEP_2)
	v_mul_lo_u32 v4, v53, s24
	v_mul_lo_u32 v9, v52, s25
	s_load_b64 s[2:3], s[14:15], 0x0
	v_mad_u64_u32 v[7:8], null, v52, s24, 0
	s_load_b64 s[24:25], s[12:13], 0x0
	s_add_u32 s22, s22, 1
	s_addc_u32 s23, s23, 0
	s_add_u32 s12, s12, 8
	s_addc_u32 s13, s13, 0
	s_add_u32 s14, s14, 8
	s_delay_alu instid0(VALU_DEP_1) | instskip(SKIP_3) | instid1(VALU_DEP_2)
	v_add3_u32 v4, v8, v9, v4
	v_sub_co_u32 v8, vcc_lo, v5, v7
	s_addc_u32 s15, s15, 0
	s_add_u32 s20, s20, 8
	v_sub_co_ci_u32_e32 v6, vcc_lo, v6, v4, vcc_lo
	s_addc_u32 s21, s21, 0
	s_waitcnt lgkmcnt(0)
	s_delay_alu instid0(VALU_DEP_1)
	v_mul_lo_u32 v9, s2, v6
	v_mul_lo_u32 v10, s3, v8
	v_mad_u64_u32 v[4:5], null, s2, v8, v[1:2]
	v_mul_lo_u32 v11, s24, v6
	v_mul_lo_u32 v12, s25, v8
	v_mad_u64_u32 v[6:7], null, s24, v8, v[48:49]
	v_cmp_ge_u64_e64 s2, s[22:23], s[10:11]
	v_add3_u32 v2, v10, v5, v9
	s_delay_alu instid0(VALU_DEP_3) | instskip(NEXT) | instid1(VALU_DEP_4)
	v_dual_mov_b32 v1, v4 :: v_dual_mov_b32 v48, v6
	v_add3_u32 v49, v12, v7, v11
	s_delay_alu instid0(VALU_DEP_4)
	s_and_b32 vcc_lo, exec_lo, s2
	s_cbranch_vccnz .LBB0_9
; %bb.7:                                ;   in Loop: Header=BB0_2 Depth=1
	v_dual_mov_b32 v5, v52 :: v_dual_mov_b32 v6, v53
	s_branch .LBB0_2
.LBB0_8:
	v_dual_mov_b32 v49, v2 :: v_dual_mov_b32 v48, v1
	v_dual_mov_b32 v53, v6 :: v_dual_mov_b32 v52, v5
.LBB0_9:
	s_load_b64 s[0:1], s[0:1], 0x28
	v_mul_hi_u32 v3, 0x1ca4b31, v0
	s_lshl_b64 s[10:11], s[10:11], 3
                                        ; implicit-def: $vgpr50
	s_delay_alu instid0(SALU_CYCLE_1) | instskip(SKIP_4) | instid1(VALU_DEP_1)
	s_add_u32 s2, s18, s10
	s_addc_u32 s3, s19, s11
	s_waitcnt lgkmcnt(0)
	v_cmp_gt_u64_e32 vcc_lo, s[0:1], v[52:53]
	v_cmp_le_u64_e64 s0, s[0:1], v[52:53]
	s_and_saveexec_b32 s1, s0
	s_delay_alu instid0(SALU_CYCLE_1)
	s_xor_b32 s0, exec_lo, s1
; %bb.10:
	v_mul_u32_u24_e32 v1, 0x8f, v3
                                        ; implicit-def: $vgpr3
	s_delay_alu instid0(VALU_DEP_1)
	v_sub_nc_u32_e32 v50, v0, v1
                                        ; implicit-def: $vgpr0
                                        ; implicit-def: $vgpr1_vgpr2
; %bb.11:
	s_and_not1_saveexec_b32 s1, s0
	s_cbranch_execz .LBB0_13
; %bb.12:
	s_add_u32 s10, s16, s10
	s_addc_u32 s11, s17, s11
	v_lshlrev_b64 v[1:2], 4, v[1:2]
	s_load_b64 s[10:11], s[10:11], 0x0
	s_waitcnt lgkmcnt(0)
	v_mul_lo_u32 v6, s11, v52
	v_mul_lo_u32 v7, s10, v53
	v_mad_u64_u32 v[4:5], null, s10, v52, 0
	s_delay_alu instid0(VALU_DEP_1) | instskip(SKIP_1) | instid1(VALU_DEP_2)
	v_add3_u32 v5, v5, v7, v6
	v_mul_u32_u24_e32 v6, 0x8f, v3
	v_lshlrev_b64 v[3:4], 4, v[4:5]
	s_delay_alu instid0(VALU_DEP_2) | instskip(NEXT) | instid1(VALU_DEP_1)
	v_sub_nc_u32_e32 v50, v0, v6
	v_lshlrev_b32_e32 v40, 4, v50
	s_delay_alu instid0(VALU_DEP_3) | instskip(NEXT) | instid1(VALU_DEP_1)
	v_add_co_u32 v0, s0, s4, v3
	v_add_co_ci_u32_e64 v3, s0, s5, v4, s0
	s_delay_alu instid0(VALU_DEP_2) | instskip(NEXT) | instid1(VALU_DEP_1)
	v_add_co_u32 v0, s0, v0, v1
	v_add_co_ci_u32_e64 v1, s0, v3, v2, s0
	s_delay_alu instid0(VALU_DEP_2) | instskip(NEXT) | instid1(VALU_DEP_1)
	v_add_co_u32 v8, s0, v0, v40
	v_add_co_ci_u32_e64 v9, s0, 0, v1, s0
	s_clause 0x1
	global_load_b128 v[0:3], v[8:9], off
	global_load_b128 v[4:7], v[8:9], off offset:2288
	v_add_co_u32 v12, s0, 0x1000, v8
	s_delay_alu instid0(VALU_DEP_1) | instskip(SKIP_1) | instid1(VALU_DEP_1)
	v_add_co_ci_u32_e64 v13, s0, 0, v9, s0
	v_add_co_u32 v20, s0, 0x2000, v8
	v_add_co_ci_u32_e64 v21, s0, 0, v9, s0
	v_add_co_u32 v28, s0, 0x3000, v8
	s_delay_alu instid0(VALU_DEP_1) | instskip(SKIP_1) | instid1(VALU_DEP_1)
	v_add_co_ci_u32_e64 v29, s0, 0, v9, s0
	v_add_co_u32 v32, s0, 0x4000, v8
	v_add_co_ci_u32_e64 v33, s0, 0, v9, s0
	v_add_co_u32 v36, s0, 0x5000, v8
	s_delay_alu instid0(VALU_DEP_1)
	v_add_co_ci_u32_e64 v37, s0, 0, v9, s0
	s_clause 0x7
	global_load_b128 v[8:11], v[12:13], off offset:480
	global_load_b128 v[12:15], v[12:13], off offset:2768
	;; [unrolled: 1-line block ×8, first 2 shown]
	v_add_nc_u32_e32 v40, 0, v40
	s_waitcnt vmcnt(9)
	ds_store_b128 v40, v[0:3]
	s_waitcnt vmcnt(8)
	ds_store_b128 v40, v[4:7] offset:2288
	s_waitcnt vmcnt(7)
	ds_store_b128 v40, v[8:11] offset:4576
	;; [unrolled: 2-line block ×9, first 2 shown]
.LBB0_13:
	s_or_b32 exec_lo, exec_lo, s1
	s_delay_alu instid0(VALU_DEP_1)
	v_lshl_add_u32 v126, v50, 4, 0
	s_waitcnt lgkmcnt(0)
	s_barrier
	buffer_gl0_inv
	s_mov_b32 s0, 0x4267c47c
	ds_load_b128 v[4:7], v126
	ds_load_b128 v[8:11], v126 offset:1760
	ds_load_b128 v[20:23], v126 offset:3520
	;; [unrolled: 1-line block ×5, first 2 shown]
	s_mov_b32 s12, 0x42a4c3d2
	s_mov_b32 s1, 0xbfddbe06
	;; [unrolled: 1-line block ×17, first 2 shown]
	s_waitcnt lgkmcnt(4)
	v_add_f64 v[0:1], v[4:5], v[8:9]
	v_add_f64 v[2:3], v[6:7], v[10:11]
	s_mov_b32 s17, 0x3fbedb7d
	s_mov_b32 s27, 0xbfe5384d
	;; [unrolled: 1-line block ×18, first 2 shown]
	s_waitcnt lgkmcnt(3)
	s_delay_alu instid0(VALU_DEP_2) | instskip(NEXT) | instid1(VALU_DEP_2)
	v_add_f64 v[0:1], v[0:1], v[20:21]
	v_add_f64 v[2:3], v[2:3], v[22:23]
	s_waitcnt lgkmcnt(2)
	s_delay_alu instid0(VALU_DEP_2) | instskip(NEXT) | instid1(VALU_DEP_2)
	v_add_f64 v[0:1], v[0:1], v[24:25]
	v_add_f64 v[2:3], v[2:3], v[26:27]
	;; [unrolled: 4-line block ×3, first 2 shown]
	ds_load_b128 v[0:3], v126 offset:21120
	ds_load_b128 v[12:15], v126 offset:19360
	ds_load_b128 v[16:19], v126 offset:17600
	s_waitcnt lgkmcnt(1)
	v_add_f64 v[124:125], v[22:23], -v[14:15]
	v_add_f64 v[120:121], v[10:11], -v[2:3]
	;; [unrolled: 1-line block ×4, first 2 shown]
	v_add_f64 v[106:107], v[10:11], v[2:3]
	v_add_f64 v[114:115], v[8:9], v[0:1]
	s_waitcnt lgkmcnt(0)
	v_add_f64 v[129:130], v[26:27], -v[18:19]
	v_add_f64 v[108:109], v[22:23], v[14:15]
	v_add_f64 v[82:83], v[26:27], v[18:19]
	v_add_f64 v[112:113], v[20:21], v[12:13]
	v_add_f64 v[131:132], v[24:25], -v[16:17]
	v_add_f64 v[86:87], v[24:25], v[16:17]
	v_add_f64 v[46:47], v[36:37], v[32:33]
	;; [unrolled: 1-line block ×3, first 2 shown]
	ds_load_b128 v[38:41], v126 offset:14080
	ds_load_b128 v[42:45], v126 offset:15840
	;; [unrolled: 1-line block ×4, first 2 shown]
	s_waitcnt lgkmcnt(0)
	s_barrier
	buffer_gl0_inv
	v_add_f64 v[139:140], v[32:33], -v[38:39]
	v_add_f64 v[68:69], v[32:33], v[38:39]
	v_mul_f64 v[92:93], v[120:121], s[0:1]
	v_mul_f64 v[104:105], v[120:121], s[12:13]
	;; [unrolled: 1-line block ×15, first 2 shown]
	v_add_f64 v[10:11], v[46:47], v[56:57]
	v_add_f64 v[46:47], v[54:55], v[58:59]
	v_add_f64 v[135:136], v[28:29], -v[42:43]
	v_add_f64 v[137:138], v[34:35], -v[40:41]
	;; [unrolled: 1-line block ×4, first 2 shown]
	v_add_f64 v[72:73], v[30:31], v[44:45]
	v_add_f64 v[62:63], v[34:35], v[40:41]
	;; [unrolled: 1-line block ×5, first 2 shown]
	v_mul_f64 v[90:91], v[127:128], s[12:13]
	v_mul_f64 v[78:79], v[129:130], s[14:15]
	;; [unrolled: 1-line block ×11, first 2 shown]
	v_add_f64 v[133:134], v[30:31], -v[44:45]
	v_fma_f64 v[151:152], v[114:115], s[4:5], v[92:93]
	v_fma_f64 v[169:170], v[114:115], s[10:11], v[104:105]
	v_fma_f64 v[177:178], v[106:107], s[10:11], -v[110:111]
	v_fma_f64 v[163:164], v[106:107], s[4:5], -v[102:103]
	v_fma_f64 v[185:186], v[112:113], s[10:11], v[88:89]
	v_fma_f64 v[189:190], v[112:113], s[22:23], v[98:99]
	;; [unrolled: 1-line block ×3, first 2 shown]
	v_fma_f64 v[8:9], v[114:115], s[16:17], -v[8:9]
	v_fma_f64 v[187:188], v[122:123], s[30:31], v[20:21]
	v_fma_f64 v[20:21], v[122:123], s[14:15], v[20:21]
	v_fma_f64 v[191:192], v[108:109], s[22:23], -v[100:101]
	v_fma_f64 v[193:194], v[122:123], s[34:35], v[32:33]
	v_fma_f64 v[32:33], v[122:123], s[24:25], v[32:33]
	;; [unrolled: 1-line block ×4, first 2 shown]
	v_add_f64 v[10:11], v[10:11], v[116:117]
	v_add_f64 v[22:23], v[46:47], v[118:119]
	v_mul_f64 v[116:117], v[124:125], s[28:29]
	v_mul_f64 v[118:119], v[108:109], s[20:21]
	;; [unrolled: 1-line block ×3, first 2 shown]
	v_fma_f64 v[155:156], v[114:115], s[20:21], -v[155:156]
	v_fma_f64 v[159:160], v[122:123], s[26:27], v[159:160]
	v_fma_f64 v[211:212], v[114:115], s[18:19], v[120:121]
	;; [unrolled: 1-line block ×3, first 2 shown]
	v_fma_f64 v[120:121], v[114:115], s[18:19], -v[120:121]
	v_fma_f64 v[122:123], v[122:123], s[38:39], v[175:176]
	v_mul_f64 v[80:81], v[131:132], s[14:15]
	v_mul_f64 v[94:95], v[129:130], s[38:39]
	;; [unrolled: 1-line block ×9, first 2 shown]
	v_fma_f64 v[195:196], v[112:113], s[18:19], v[24:25]
	v_fma_f64 v[197:198], v[127:128], s[42:43], v[28:29]
	;; [unrolled: 1-line block ×3, first 2 shown]
	v_add_f64 v[151:152], v[4:5], v[151:152]
	v_add_f64 v[169:170], v[4:5], v[169:170]
	v_add_f64 v[177:178], v[6:7], v[177:178]
	v_fma_f64 v[24:25], v[112:113], s[18:19], -v[24:25]
	v_fma_f64 v[28:29], v[127:128], s[38:39], v[28:29]
	v_fma_f64 v[34:35], v[131:132], s[34:35], v[34:35]
	v_add_f64 v[163:164], v[6:7], v[163:164]
	v_fma_f64 v[209:210], v[131:132], s[0:1], v[147:148]
	v_fma_f64 v[147:148], v[131:132], s[40:41], v[147:148]
	v_add_f64 v[181:182], v[4:5], v[181:182]
	v_fma_f64 v[175:176], v[127:128], s[14:15], v[161:162]
	v_add_f64 v[187:188], v[6:7], v[187:188]
	v_add_f64 v[8:9], v[4:5], v[8:9]
	;; [unrolled: 1-line block ×6, first 2 shown]
	v_fma_f64 v[40:41], v[114:115], s[22:23], v[26:27]
	v_fma_f64 v[26:27], v[114:115], s[22:23], -v[26:27]
	v_fma_f64 v[38:39], v[108:109], s[10:11], -v[90:91]
	v_fma_f64 v[201:202], v[112:113], s[20:21], v[116:117]
	v_fma_f64 v[205:206], v[127:128], s[26:27], v[118:119]
	v_fma_f64 v[116:117], v[112:113], s[20:21], -v[116:117]
	v_fma_f64 v[118:119], v[127:128], s[28:29], v[118:119]
	v_mul_f64 v[129:130], v[129:130], s[26:27]
	v_add_f64 v[203:204], v[4:5], v[203:204]
	v_add_f64 v[207:208], v[6:7], v[207:208]
	;; [unrolled: 1-line block ×8, first 2 shown]
	v_mul_f64 v[70:71], v[133:134], s[24:25]
	v_mul_f64 v[74:75], v[135:136], s[24:25]
	;; [unrolled: 1-line block ×5, first 2 shown]
	v_add_f64 v[151:152], v[185:186], v[151:152]
	v_fma_f64 v[185:186], v[112:113], s[16:17], v[157:158]
	v_fma_f64 v[157:158], v[112:113], s[16:17], -v[157:158]
	v_add_f64 v[169:170], v[189:190], v[169:170]
	v_fma_f64 v[189:190], v[112:113], s[4:5], v[124:125]
	v_fma_f64 v[124:125], v[112:113], s[4:5], -v[124:125]
	v_add_f64 v[177:178], v[191:192], v[177:178]
	v_fma_f64 v[191:192], v[86:87], s[16:17], v[78:79]
	v_mul_f64 v[173:174], v[62:63], s[4:5]
	v_add_f64 v[181:182], v[195:196], v[181:182]
	v_fma_f64 v[195:196], v[82:83], s[16:17], -v[80:81]
	v_add_f64 v[187:188], v[197:198], v[187:188]
	v_fma_f64 v[197:198], v[86:87], s[18:19], v[94:95]
	v_add_f64 v[8:9], v[24:25], v[8:9]
	v_fma_f64 v[24:25], v[82:83], s[18:19], -v[96:97]
	v_add_f64 v[10:11], v[10:11], v[42:43]
	v_add_f64 v[22:23], v[22:23], v[44:45]
	v_fma_f64 v[42:43], v[131:132], s[36:37], v[167:168]
	v_add_f64 v[40:41], v[4:5], v[40:41]
	v_fma_f64 v[44:45], v[127:128], s[30:31], v[161:162]
	v_fma_f64 v[161:162], v[131:132], s[12:13], v[167:168]
	v_add_f64 v[167:168], v[6:7], v[193:194]
	v_fma_f64 v[193:194], v[127:128], s[0:1], v[179:180]
	;; [unrolled: 3-line block ×3, first 2 shown]
	v_fma_f64 v[131:132], v[131:132], s[26:27], v[183:184]
	v_mul_f64 v[183:184], v[72:73], s[10:11]
	v_add_f64 v[38:39], v[38:39], v[163:164]
	v_mul_f64 v[163:164], v[62:63], s[22:23]
	v_add_f64 v[20:21], v[28:29], v[20:21]
	v_fma_f64 v[28:29], v[86:87], s[22:23], v[30:31]
	v_fma_f64 v[215:216], v[135:136], s[38:39], v[171:172]
	;; [unrolled: 1-line block ×3, first 2 shown]
	v_add_f64 v[32:33], v[118:119], v[32:33]
	v_mul_f64 v[118:119], v[135:136], s[28:29]
	v_fma_f64 v[30:31], v[86:87], s[22:23], -v[30:31]
	v_add_f64 v[175:176], v[175:176], v[207:208]
	v_fma_f64 v[207:208], v[86:87], s[10:11], v[165:166]
	v_fma_f64 v[165:166], v[86:87], s[10:11], -v[165:166]
	v_add_f64 v[155:156], v[157:158], v[155:156]
	v_mul_f64 v[157:158], v[133:134], s[14:15]
	v_mul_f64 v[64:65], v[137:138], s[26:27]
	;; [unrolled: 1-line block ×3, first 2 shown]
	v_fma_f64 v[219:220], v[139:140], s[38:39], v[153:154]
	v_add_f64 v[151:152], v[191:192], v[151:152]
	v_fma_f64 v[191:192], v[86:87], s[20:21], v[129:130]
	v_fma_f64 v[129:130], v[86:87], s[20:21], -v[129:130]
	v_fma_f64 v[153:154], v[139:140], s[42:43], v[153:154]
	v_mul_f64 v[54:55], v[141:142], s[38:39]
	v_add_f64 v[169:170], v[197:198], v[169:170]
	v_mul_f64 v[60:61], v[36:37], s[38:39]
	v_add_f64 v[24:25], v[24:25], v[177:178]
	v_fma_f64 v[177:178], v[72:73], s[22:23], -v[74:75]
	v_add_f64 v[10:11], v[10:11], v[16:17]
	v_add_f64 v[16:17], v[22:23], v[18:19]
	;; [unrolled: 1-line block ×3, first 2 shown]
	v_fma_f64 v[201:202], v[135:136], s[0:1], v[46:47]
	v_fma_f64 v[46:47], v[135:136], s[40:41], v[46:47]
	v_add_f64 v[167:168], v[205:206], v[167:168]
	v_fma_f64 v[205:206], v[135:136], s[30:31], v[149:150]
	v_fma_f64 v[149:150], v[135:136], s[14:15], v[149:150]
	v_add_f64 v[26:27], v[116:117], v[26:27]
	v_add_f64 v[44:45], v[44:45], v[159:160]
	;; [unrolled: 1-line block ×3, first 2 shown]
	v_fma_f64 v[217:218], v[135:136], s[12:13], v[183:184]
	v_fma_f64 v[183:184], v[135:136], s[36:37], v[183:184]
	v_add_f64 v[135:136], v[185:186], v[203:204]
	v_mul_f64 v[185:186], v[133:134], s[40:41]
	v_fma_f64 v[203:204], v[86:87], s[4:5], v[145:146]
	v_fma_f64 v[145:146], v[86:87], s[4:5], -v[145:146]
	v_mul_f64 v[189:190], v[133:134], s[42:43]
	v_add_f64 v[193:194], v[193:194], v[213:214]
	v_add_f64 v[211:212], v[124:125], v[120:121]
	;; [unrolled: 1-line block ×3, first 2 shown]
	v_mul_f64 v[133:134], v[133:134], s[36:37]
	v_mul_f64 v[116:117], v[137:138], s[30:31]
	v_fma_f64 v[213:214], v[139:140], s[36:37], v[143:144]
	v_fma_f64 v[143:144], v[139:140], s[12:13], v[143:144]
	v_add_f64 v[38:39], v[195:196], v[38:39]
	v_fma_f64 v[195:196], v[139:140], s[0:1], v[173:174]
	v_fma_f64 v[173:174], v[139:140], s[40:41], v[173:174]
	;; [unrolled: 1-line block ×4, first 2 shown]
	v_mul_f64 v[120:121], v[139:140], s[30:31]
	v_fma_f64 v[139:140], v[76:77], s[22:23], v[70:71]
	v_add_f64 v[28:29], v[28:29], v[181:182]
	v_add_f64 v[181:182], v[199:200], v[187:188]
	v_fma_f64 v[187:188], v[76:77], s[20:21], v[84:85]
	v_add_f64 v[8:9], v[30:31], v[8:9]
	v_fma_f64 v[30:31], v[72:73], s[20:21], -v[118:119]
	v_add_f64 v[20:21], v[34:35], v[20:21]
	v_add_f64 v[32:33], v[147:148], v[32:33]
	v_fma_f64 v[147:148], v[76:77], s[16:17], v[157:158]
	v_fma_f64 v[157:158], v[76:77], s[16:17], -v[157:158]
	v_add_f64 v[42:43], v[42:43], v[175:176]
	v_add_f64 v[155:156], v[165:166], v[155:156]
	;; [unrolled: 1-line block ×3, first 2 shown]
	v_mul_f64 v[165:166], v[137:138], s[42:43]
	v_mul_f64 v[122:123], v[141:142], s[40:41]
	;; [unrolled: 1-line block ×3, first 2 shown]
	v_add_f64 v[44:45], v[161:162], v[44:45]
	v_add_f64 v[159:160], v[191:192], v[159:160]
	v_mul_f64 v[199:200], v[141:142], s[26:27]
	v_mul_f64 v[175:176], v[58:59], s[20:21]
	v_add_f64 v[135:136], v[207:208], v[135:136]
	v_fma_f64 v[34:35], v[76:77], s[4:5], v[185:186]
	v_add_f64 v[40:41], v[203:204], v[40:41]
	v_fma_f64 v[185:186], v[76:77], s[4:5], -v[185:186]
	v_add_f64 v[26:27], v[145:146], v[26:27]
	v_mul_f64 v[145:146], v[137:138], s[12:13]
	v_fma_f64 v[161:162], v[76:77], s[18:19], v[189:190]
	v_add_f64 v[179:180], v[179:180], v[193:194]
	v_mul_f64 v[193:194], v[137:138], s[40:41]
	v_mul_f64 v[137:138], v[137:138], s[24:25]
	v_fma_f64 v[189:190], v[76:77], s[18:19], -v[189:190]
	v_add_f64 v[129:130], v[129:130], v[211:212]
	v_add_f64 v[127:128], v[131:132], v[127:128]
	v_fma_f64 v[131:132], v[76:77], s[10:11], v[133:134]
	v_fma_f64 v[133:134], v[76:77], s[10:11], -v[133:134]
	v_mul_f64 v[191:192], v[141:142], s[36:37]
	v_mul_f64 v[203:204], v[58:59], s[10:11]
	v_add_f64 v[38:39], v[177:178], v[38:39]
	v_add_f64 v[139:140], v[139:140], v[151:152]
	v_mul_f64 v[151:152], v[141:142], s[24:25]
	v_mul_f64 v[177:178], v[58:59], s[22:23]
	;; [unrolled: 1-line block ×3, first 2 shown]
	v_add_f64 v[169:170], v[187:188], v[169:170]
	v_mul_f64 v[187:188], v[58:59], s[16:17]
	v_add_f64 v[24:25], v[30:31], v[24:25]
	v_fma_f64 v[30:31], v[68:69], s[20:21], v[64:65]
	v_add_f64 v[181:182], v[201:202], v[181:182]
	v_add_f64 v[20:21], v[46:47], v[20:21]
	v_fma_f64 v[46:47], v[68:69], s[16:17], v[116:117]
	v_add_f64 v[32:33], v[149:150], v[32:33]
	v_add_f64 v[167:168], v[205:206], v[167:168]
	;; [unrolled: 1-line block ×3, first 2 shown]
	v_fma_f64 v[201:202], v[56:57], s[18:19], v[54:55]
	v_fma_f64 v[205:206], v[56:57], s[4:5], v[122:123]
	v_add_f64 v[44:45], v[171:172], v[44:45]
	s_mov_b32 s1, exec_lo
	v_fma_f64 v[22:23], v[56:57], s[20:21], v[199:200]
	v_fma_f64 v[171:172], v[36:37], s[26:27], v[175:176]
	v_add_f64 v[28:29], v[34:35], v[28:29]
	v_fma_f64 v[34:35], v[62:63], s[20:21], -v[66:67]
	v_add_f64 v[8:9], v[185:186], v[8:9]
	v_add_f64 v[40:41], v[147:148], v[40:41]
	v_fma_f64 v[147:148], v[62:63], s[16:17], -v[120:121]
	v_add_f64 v[26:27], v[157:158], v[26:27]
	v_fma_f64 v[149:150], v[68:69], s[10:11], v[145:146]
	v_fma_f64 v[145:146], v[68:69], s[10:11], -v[145:146]
	v_add_f64 v[135:136], v[161:162], v[135:136]
	v_fma_f64 v[161:162], v[68:69], s[18:19], v[165:166]
	v_fma_f64 v[165:166], v[68:69], s[18:19], -v[165:166]
	v_fma_f64 v[207:208], v[68:69], s[4:5], v[193:194]
	v_fma_f64 v[193:194], v[68:69], s[4:5], -v[193:194]
	v_add_f64 v[155:156], v[189:190], v[155:156]
	v_fma_f64 v[189:190], v[68:69], s[22:23], v[137:138]
	v_fma_f64 v[137:138], v[68:69], s[22:23], -v[137:138]
	v_add_f64 v[131:132], v[131:132], v[159:160]
	v_add_f64 v[159:160], v[217:218], v[179:180]
	v_add_f64 v[129:130], v[133:134], v[129:130]
	v_add_f64 v[18:19], v[183:184], v[127:128]
	v_fma_f64 v[185:186], v[58:59], s[18:19], -v[60:61]
	v_fma_f64 v[157:158], v[58:59], s[4:5], -v[124:125]
	v_fma_f64 v[127:128], v[36:37], s[28:29], v[175:176]
	v_fma_f64 v[133:134], v[56:57], s[20:21], -v[199:200]
	v_fma_f64 v[175:176], v[56:57], s[10:11], v[191:192]
	v_fma_f64 v[179:180], v[36:37], s[12:13], v[203:204]
	v_fma_f64 v[183:184], v[56:57], s[10:11], -v[191:192]
	v_fma_f64 v[191:192], v[36:37], s[36:37], v[203:204]
	v_fma_f64 v[199:200], v[56:57], s[22:23], v[151:152]
	;; [unrolled: 1-line block ×3, first 2 shown]
	v_fma_f64 v[151:152], v[56:57], s[22:23], -v[151:152]
	v_fma_f64 v[177:178], v[36:37], s[24:25], v[177:178]
	v_fma_f64 v[209:210], v[36:37], s[14:15], v[187:188]
	;; [unrolled: 1-line block ×4, first 2 shown]
	v_fma_f64 v[141:142], v[56:57], s[16:17], -v[141:142]
	v_add_f64 v[30:31], v[30:31], v[139:140]
	v_add_f64 v[36:37], v[46:47], v[169:170]
	;; [unrolled: 1-line block ×44, first 2 shown]
	v_cmpx_gt_u32_e32 0x6e, v50
	s_cbranch_execz .LBB0_15
; %bb.14:
	v_mul_f64 v[127:128], v[106:107], s[10:11]
	v_mul_f64 v[129:130], v[114:115], s[10:11]
	;; [unrolled: 1-line block ×8, first 2 shown]
	v_mad_u32_u24 v51, 0xc0, v50, v126
	v_add_f64 v[110:111], v[110:111], v[127:128]
	v_add_f64 v[104:105], v[129:130], -v[104:105]
	v_add_f64 v[102:103], v[102:103], v[106:107]
	v_add_f64 v[92:93], v[114:115], -v[92:93]
	v_mul_f64 v[106:107], v[86:87], s[16:17]
	v_mul_f64 v[114:115], v[82:83], s[16:17]
	v_mul_f64 v[86:87], v[86:87], s[18:19]
	v_mul_f64 v[82:83], v[82:83], s[18:19]
	v_add_f64 v[100:101], v[100:101], v[131:132]
	v_add_f64 v[98:99], v[133:134], -v[98:99]
	v_add_f64 v[90:91], v[90:91], v[108:109]
	v_add_f64 v[88:89], v[112:113], -v[88:89]
	v_add_f64 v[108:109], v[6:7], v[110:111]
	v_add_f64 v[104:105], v[4:5], v[104:105]
	v_add_f64 v[6:7], v[6:7], v[102:103]
	v_add_f64 v[4:5], v[4:5], v[92:93]
	v_mul_f64 v[92:93], v[76:77], s[22:23]
	v_mul_f64 v[102:103], v[72:73], s[22:23]
	v_mul_f64 v[76:77], v[76:77], s[20:21]
	v_mul_f64 v[72:73], v[72:73], s[20:21]
	v_add_f64 v[82:83], v[96:97], v[82:83]
	v_add_f64 v[86:87], v[86:87], -v[94:95]
	v_add_f64 v[80:81], v[80:81], v[114:115]
	v_add_f64 v[78:79], v[106:107], -v[78:79]
	v_add_f64 v[94:95], v[100:101], v[108:109]
	v_add_f64 v[96:97], v[98:99], v[104:105]
	v_add_f64 v[6:7], v[90:91], v[6:7]
	v_add_f64 v[4:5], v[88:89], v[4:5]
	;; [unrolled: 12-line block ×4, first 2 shown]
	v_add_f64 v[54:55], v[78:79], -v[54:55]
	v_add_f64 v[60:61], v[60:61], v[80:81]
	v_add_f64 v[56:57], v[56:57], -v[122:123]
	v_add_f64 v[58:59], v[124:125], v[58:59]
	v_add_f64 v[62:63], v[62:63], v[72:73]
	;; [unrolled: 1-line block ×5, first 2 shown]
	s_delay_alu instid0(VALU_DEP_4) | instskip(NEXT) | instid1(VALU_DEP_4)
	v_add_f64 v[6:7], v[58:59], v[62:63]
	v_add_f64 v[4:5], v[56:57], v[68:69]
	s_delay_alu instid0(VALU_DEP_4) | instskip(NEXT) | instid1(VALU_DEP_4)
	v_add_f64 v[56:57], v[60:61], v[66:67]
	v_add_f64 v[54:55], v[54:55], v[64:65]
	ds_store_b128 v51, v[0:3]
	ds_store_b128 v51, v[16:19] offset:16
	ds_store_b128 v51, v[12:15] offset:32
	;; [unrolled: 1-line block ×12, first 2 shown]
.LBB0_15:
	s_or_b32 exec_lo, exec_lo, s1
	v_cmp_gt_u32_e64 s0, 0x82, v50
	s_waitcnt lgkmcnt(0)
	s_barrier
	buffer_gl0_inv
	s_and_saveexec_b32 s1, s0
	s_cbranch_execz .LBB0_17
; %bb.16:
	ds_load_b128 v[0:3], v126
	ds_load_b128 v[16:19], v126 offset:2080
	ds_load_b128 v[12:15], v126 offset:4160
	;; [unrolled: 1-line block ×10, first 2 shown]
.LBB0_17:
	s_or_b32 exec_lo, exec_lo, s1
	s_waitcnt lgkmcnt(0)
	s_barrier
	buffer_gl0_inv
	s_and_saveexec_b32 s33, s0
	s_cbranch_execz .LBB0_19
; %bb.18:
	v_and_b32_e32 v4, 0xff, v50
	s_mov_b32 s24, 0xbb3a28a1
	s_mov_b32 s20, 0xfd768dbf
	;; [unrolled: 1-line block ×4, first 2 shown]
	v_mul_lo_u16 v4, 0x4f, v4
	s_mov_b32 s17, 0x3fed1bb4
	s_mov_b32 s16, 0x8eee2c13
	;; [unrolled: 1-line block ×4, first 2 shown]
	v_lshrrev_b16 v51, 10, v4
	s_mov_b32 s23, 0xbfefac9e
	s_mov_b32 s19, 0x3fe14ced
	;; [unrolled: 1-line block ×4, first 2 shown]
	v_mul_lo_u16 v4, v51, 13
	s_mov_b32 s4, 0x7f775887
	s_mov_b32 s14, 0x9bcd5057
	s_mov_b32 s5, 0xbfe4f49e
	s_mov_b32 s15, 0xbfeeb42a
	v_sub_nc_u16 v4, v50, v4
	s_mov_b32 s27, 0x3fefac9e
	s_mov_b32 s31, 0x3fd207e7
	;; [unrolled: 1-line block ×4, first 2 shown]
	v_and_b32_e32 v58, 0xff, v4
	s_mov_b32 s10, 0x640f44db
	s_mov_b32 s0, 0xd9c712b6
	;; [unrolled: 1-line block ×4, first 2 shown]
	v_mul_u32_u24_e32 v4, 10, v58
	s_mov_b32 s1, 0x3fda9628
	s_mov_b32 s13, 0x3feaeb8c
	s_delay_alu instid0(VALU_DEP_1)
	v_lshlrev_b32_e32 v4, 4, v4
	s_clause 0x9
	global_load_b128 v[54:57], v4, s[8:9]
	global_load_b128 v[59:62], v4, s[8:9] offset:48
	global_load_b128 v[63:66], v4, s[8:9] offset:96
	;; [unrolled: 1-line block ×9, first 2 shown]
	s_waitcnt vmcnt(9)
	v_mul_f64 v[91:92], v[16:17], v[56:57]
	v_mul_f64 v[56:57], v[18:19], v[56:57]
	s_waitcnt vmcnt(8)
	v_mul_f64 v[93:94], v[26:27], v[61:62]
	s_waitcnt vmcnt(6)
	v_mul_f64 v[97:98], v[46:47], v[69:70]
	v_mul_f64 v[69:70], v[44:45], v[69:70]
	;; [unrolled: 1-line block ×4, first 2 shown]
	s_waitcnt vmcnt(2)
	v_mul_f64 v[105:106], v[38:39], v[85:86]
	s_waitcnt vmcnt(1)
	v_mul_f64 v[107:108], v[14:15], v[89:90]
	v_mul_f64 v[89:90], v[12:13], v[89:90]
	;; [unrolled: 1-line block ×10, first 2 shown]
	s_waitcnt vmcnt(0)
	v_mul_f64 v[109:110], v[10:11], v[6:7]
	v_mul_f64 v[111:112], v[8:9], v[6:7]
	v_fma_f64 v[91:92], v[18:19], v[54:55], -v[91:92]
	v_fma_f64 v[56:57], v[16:17], v[54:55], v[56:57]
	v_fma_f64 v[54:55], v[24:25], v[59:60], v[93:94]
	;; [unrolled: 1-line block ×3, first 2 shown]
	v_fma_f64 v[16:17], v[46:47], v[67:68], -v[69:70]
	v_fma_f64 v[44:45], v[26:27], v[59:60], -v[61:62]
	v_fma_f64 v[24:25], v[40:41], v[63:64], v[95:96]
	v_fma_f64 v[18:19], v[36:37], v[83:84], v[105:106]
	;; [unrolled: 1-line block ×3, first 2 shown]
	v_fma_f64 v[36:37], v[14:15], v[87:88], -v[89:90]
	v_fma_f64 v[26:27], v[42:43], v[63:64], -v[65:66]
	v_fma_f64 v[40:41], v[28:29], v[71:72], v[99:100]
	v_fma_f64 v[28:29], v[32:33], v[75:76], v[101:102]
	v_fma_f64 v[32:33], v[30:31], v[71:72], -v[73:74]
	v_fma_f64 v[30:31], v[34:35], v[75:76], -v[77:78]
	v_fma_f64 v[34:35], v[20:21], v[79:80], v[103:104]
	v_fma_f64 v[22:23], v[22:23], v[79:80], -v[81:82]
	v_fma_f64 v[20:21], v[38:39], v[83:84], -v[85:86]
	v_fma_f64 v[8:9], v[8:9], v[4:5], v[109:110]
	v_fma_f64 v[4:5], v[10:11], v[4:5], -v[111:112]
	v_add_f64 v[14:15], v[2:3], v[91:92]
	v_add_f64 v[46:47], v[0:1], v[56:57]
	v_add_f64 v[10:11], v[56:57], -v[6:7]
	v_add_f64 v[12:13], v[91:92], -v[16:17]
	v_add_f64 v[77:78], v[91:92], v[16:17]
	v_add_f64 v[61:62], v[54:55], -v[24:25]
	v_add_f64 v[79:80], v[56:57], v[6:7]
	v_add_f64 v[81:82], v[54:55], v[24:25]
	v_add_f64 v[63:64], v[44:45], -v[26:27]
	v_add_f64 v[38:39], v[40:41], -v[28:29]
	v_add_f64 v[85:86], v[40:41], v[28:29]
	v_add_f64 v[42:43], v[32:33], -v[30:31]
	v_add_f64 v[65:66], v[34:35], -v[18:19]
	;; [unrolled: 3-line block ×3, first 2 shown]
	v_add_f64 v[75:76], v[36:37], -v[4:5]
	v_add_f64 v[56:57], v[59:60], v[8:9]
	v_add_f64 v[69:70], v[14:15], v[36:37]
	;; [unrolled: 1-line block ×6, first 2 shown]
	v_mul_f64 v[87:88], v[10:11], s[20:21]
	v_mul_f64 v[89:90], v[12:13], s[20:21]
	;; [unrolled: 1-line block ×13, first 2 shown]
	s_mov_b32 s17, 0xbfed1bb4
	v_add_f64 v[59:60], v[44:45], v[26:27]
	v_mul_f64 v[10:11], v[10:11], s[16:17]
	v_mul_f64 v[113:114], v[73:74], s[18:19]
	;; [unrolled: 1-line block ×18, first 2 shown]
	v_add_f64 v[22:23], v[69:70], v[22:23]
	v_add_f64 v[34:35], v[71:72], v[34:35]
	v_mul_f64 v[69:70], v[12:13], s[28:29]
	v_mul_f64 v[12:13], v[12:13], s[16:17]
	;; [unrolled: 1-line block ×5, first 2 shown]
	v_fma_f64 v[165:166], v[77:78], s[4:5], v[95:96]
	v_fma_f64 v[167:168], v[79:80], s[4:5], -v[97:98]
	v_fma_f64 v[95:96], v[77:78], s[4:5], -v[95:96]
	v_fma_f64 v[97:98], v[79:80], s[4:5], v[97:98]
	v_fma_f64 v[169:170], v[77:78], s[10:11], v[103:104]
	v_fma_f64 v[103:104], v[77:78], s[10:11], -v[103:104]
	v_fma_f64 v[171:172], v[79:80], s[10:11], -v[105:106]
	v_fma_f64 v[105:106], v[79:80], s[10:11], v[105:106]
	v_fma_f64 v[189:190], v[14:15], s[0:1], v[107:108]
	;; [unrolled: 1-line block ×3, first 2 shown]
	v_fma_f64 v[111:112], v[77:78], s[12:13], -v[111:112]
	v_fma_f64 v[191:192], v[36:37], s[0:1], -v[109:110]
	v_mul_f64 v[149:150], v[61:62], s[26:27]
	v_fma_f64 v[193:194], v[77:78], s[0:1], -v[10:11]
	v_fma_f64 v[10:11], v[77:78], s[0:1], v[10:11]
	v_fma_f64 v[179:180], v[46:47], s[12:13], v[113:114]
	v_fma_f64 v[113:114], v[46:47], s[12:13], -v[113:114]
	v_fma_f64 v[185:186], v[46:47], s[10:11], v[121:122]
	v_fma_f64 v[121:122], v[46:47], s[10:11], -v[121:122]
	v_fma_f64 v[197:198], v[56:57], s[14:15], -v[131:132]
	v_fma_f64 v[131:132], v[56:57], s[14:15], v[131:132]
	v_fma_f64 v[199:200], v[56:57], s[4:5], -v[139:140]
	v_fma_f64 v[139:140], v[56:57], s[4:5], v[139:140]
	;; [unrolled: 2-line block ×3, first 2 shown]
	v_fma_f64 v[183:184], v[14:15], s[12:13], v[119:120]
	v_fma_f64 v[187:188], v[36:37], s[12:13], -v[123:124]
	v_fma_f64 v[119:120], v[14:15], s[12:13], -v[119:120]
	v_fma_f64 v[123:124], v[36:37], s[12:13], v[123:124]
	v_mul_f64 v[151:152], v[63:64], s[26:27]
	v_mul_f64 v[61:62], v[61:62], s[24:25]
	v_add_f64 v[22:23], v[22:23], v[44:45]
	v_add_f64 v[34:35], v[34:35], v[54:55]
	v_mul_f64 v[44:45], v[73:74], s[16:17]
	v_mul_f64 v[54:55], v[75:76], s[16:17]
	v_fma_f64 v[73:74], v[77:78], s[14:15], v[87:88]
	v_fma_f64 v[75:76], v[79:80], s[14:15], -v[89:90]
	v_fma_f64 v[87:88], v[77:78], s[14:15], -v[87:88]
	v_fma_f64 v[89:90], v[79:80], s[14:15], v[89:90]
	v_fma_f64 v[195:196], v[79:80], s[0:1], v[12:13]
	v_fma_f64 v[12:13], v[79:80], s[0:1], -v[12:13]
	v_fma_f64 v[175:176], v[79:80], s[12:13], -v[69:70]
	v_fma_f64 v[69:70], v[79:80], s[12:13], v[69:70]
	;; [unrolled: 4-line block ×3, first 2 shown]
	v_add_f64 v[95:96], v[2:3], v[95:96]
	v_add_f64 v[97:98], v[0:1], v[97:98]
	;; [unrolled: 1-line block ×5, first 2 shown]
	v_fma_f64 v[177:178], v[14:15], s[4:5], v[71:72]
	v_fma_f64 v[71:72], v[14:15], s[4:5], -v[71:72]
	v_mul_f64 v[63:64], v[63:64], s[24:25]
	v_mul_f64 v[153:154], v[38:39], s[22:23]
	;; [unrolled: 1-line block ×9, first 2 shown]
	v_fma_f64 v[203:204], v[81:82], s[14:15], -v[143:144]
	v_fma_f64 v[143:144], v[81:82], s[14:15], v[143:144]
	v_add_f64 v[22:23], v[22:23], v[32:33]
	v_add_f64 v[32:33], v[34:35], v[40:41]
	v_fma_f64 v[34:35], v[14:15], s[0:1], -v[107:108]
	v_fma_f64 v[40:41], v[36:37], s[0:1], v[109:110]
	v_fma_f64 v[107:108], v[46:47], s[4:5], v[135:136]
	v_fma_f64 v[109:110], v[46:47], s[4:5], -v[135:136]
	v_fma_f64 v[135:136], v[56:57], s[10:11], -v[127:128]
	v_fma_f64 v[127:128], v[56:57], s[10:11], v[127:128]
	v_fma_f64 v[201:202], v[46:47], s[0:1], v[44:45]
	v_fma_f64 v[44:45], v[46:47], s[0:1], -v[44:45]
	v_fma_f64 v[46:47], v[56:57], s[0:1], -v[54:55]
	v_fma_f64 v[54:55], v[56:57], s[0:1], v[54:55]
	v_add_f64 v[56:57], v[2:3], v[73:74]
	v_add_f64 v[73:74], v[0:1], v[75:76]
	;; [unrolled: 1-line block ×16, first 2 shown]
	v_fma_f64 v[195:196], v[59:60], s[14:15], v[141:142]
	v_fma_f64 v[141:142], v[59:60], s[14:15], -v[141:142]
	v_fma_f64 v[131:132], v[59:60], s[4:5], v[61:62]
	v_fma_f64 v[121:122], v[81:82], s[10:11], -v[151:152]
	v_add_f64 v[12:13], v[22:23], v[30:31]
	v_add_f64 v[22:23], v[32:33], v[28:29]
	;; [unrolled: 1-line block ×4, first 2 shown]
	v_fma_f64 v[30:31], v[14:15], s[14:15], v[133:134]
	v_fma_f64 v[32:33], v[36:37], s[14:15], -v[137:138]
	v_fma_f64 v[69:70], v[14:15], s[14:15], -v[133:134]
	v_add_f64 v[97:98], v[127:128], v[97:98]
	v_fma_f64 v[133:134], v[36:37], s[14:15], v[137:138]
	v_fma_f64 v[137:138], v[14:15], s[10:11], v[65:66]
	v_fma_f64 v[14:15], v[14:15], s[10:11], -v[65:66]
	v_add_f64 v[44:45], v[44:45], v[111:112]
	v_add_f64 v[56:57], v[179:180], v[56:57]
	;; [unrolled: 1-line block ×14, first 2 shown]
	v_fma_f64 v[65:66], v[36:37], s[10:11], -v[67:68]
	v_fma_f64 v[36:37], v[36:37], s[10:11], v[67:68]
	v_fma_f64 v[67:68], v[59:60], s[0:1], v[91:92]
	v_fma_f64 v[175:176], v[81:82], s[0:1], -v[93:94]
	v_add_f64 v[95:96], v[119:120], v[95:96]
	v_fma_f64 v[91:92], v[59:60], s[0:1], -v[91:92]
	v_fma_f64 v[93:94], v[81:82], s[0:1], v[93:94]
	v_fma_f64 v[107:108], v[59:60], s[10:11], v[149:150]
	v_fma_f64 v[127:128], v[59:60], s[10:11], -v[149:150]
	v_fma_f64 v[129:130], v[81:82], s[10:11], v[151:152]
	v_add_f64 v[40:41], v[40:41], v[103:104]
	v_add_f64 v[34:35], v[34:35], v[79:80]
	v_fma_f64 v[135:136], v[85:86], s[10:11], -v[155:156]
	v_add_f64 v[12:13], v[12:13], v[26:27]
	v_add_f64 v[22:23], v[22:23], v[24:25]
	;; [unrolled: 1-line block ×4, first 2 shown]
	v_fma_f64 v[26:27], v[59:60], s[12:13], v[145:146]
	v_fma_f64 v[46:47], v[59:60], s[12:13], -v[145:146]
	v_fma_f64 v[54:55], v[81:82], s[12:13], v[147:148]
	v_add_f64 v[97:98], v[123:124], v[97:98]
	v_fma_f64 v[59:60], v[59:60], s[4:5], -v[61:62]
	v_fma_f64 v[28:29], v[81:82], s[12:13], -v[147:148]
	;; [unrolled: 1-line block ×3, first 2 shown]
	v_add_f64 v[14:15], v[14:15], v[44:45]
	v_add_f64 v[56:57], v[177:178], v[56:57]
	;; [unrolled: 1-line block ×14, first 2 shown]
	v_fma_f64 v[63:64], v[81:82], s[4:5], v[63:64]
	v_fma_f64 v[81:82], v[83:84], s[10:11], v[153:154]
	v_fma_f64 v[139:140], v[83:84], s[10:11], -v[153:154]
	v_fma_f64 v[145:146], v[85:86], s[10:11], v[155:156]
	v_fma_f64 v[30:31], v[83:84], s[0:1], -v[99:100]
	v_fma_f64 v[32:33], v[85:86], s[0:1], v[101:102]
	v_fma_f64 v[103:104], v[83:84], s[12:13], v[161:162]
	v_fma_f64 v[105:106], v[85:86], s[12:13], -v[163:164]
	v_fma_f64 v[109:110], v[83:84], s[12:13], -v[161:162]
	v_fma_f64 v[111:112], v[85:86], s[12:13], v[163:164]
	v_fma_f64 v[115:116], v[83:84], s[14:15], v[38:39]
	v_fma_f64 v[117:118], v[85:86], s[14:15], -v[42:43]
	v_fma_f64 v[38:39], v[83:84], s[14:15], -v[38:39]
	v_add_f64 v[12:13], v[12:13], v[20:21]
	v_add_f64 v[18:19], v[22:23], v[18:19]
	;; [unrolled: 1-line block ×4, first 2 shown]
	v_fma_f64 v[22:23], v[83:84], s[0:1], v[99:100]
	v_fma_f64 v[24:25], v[85:86], s[0:1], -v[101:102]
	v_fma_f64 v[36:37], v[83:84], s[4:5], v[157:158]
	v_fma_f64 v[65:66], v[85:86], s[4:5], -v[159:160]
	v_fma_f64 v[99:100], v[83:84], s[4:5], -v[157:158]
	v_fma_f64 v[101:102], v[85:86], s[4:5], v[159:160]
	v_fma_f64 v[83:84], v[85:86], s[14:15], v[42:43]
	v_add_f64 v[85:86], v[141:142], v[95:96]
	v_add_f64 v[42:43], v[67:68], v[56:57]
	v_add_f64 v[56:57], v[175:176], v[73:74]
	v_add_f64 v[67:68], v[91:92], v[71:72]
	v_add_f64 v[71:72], v[93:94], v[75:76]
	v_add_f64 v[73:74], v[195:196], v[87:88]
	v_add_f64 v[87:88], v[143:144], v[97:98]
	v_add_f64 v[75:76], v[203:204], v[89:90]
	v_add_f64 v[26:27], v[26:27], v[77:78]
	v_add_f64 v[40:41], v[54:55], v[40:41]
	v_add_f64 v[54:55], v[59:60], v[14:15]
	v_add_f64 v[44:45], v[127:128], v[44:45]
	v_add_f64 v[59:60], v[129:130], v[69:70]
	v_add_f64 v[28:29], v[28:29], v[113:114]
	v_add_f64 v[34:35], v[46:47], v[34:35]
	v_add_f64 v[69:70], v[107:108], v[2:3]
	v_add_f64 v[77:78], v[121:122], v[10:11]
	v_add_f64 v[46:47], v[131:132], v[79:80]
	v_add_f64 v[4:5], v[12:13], v[4:5]
	v_add_f64 v[79:80], v[18:19], v[8:9]
	v_add_f64 v[63:64], v[63:64], v[20:21]
	v_add_f64 v[61:62], v[61:62], v[0:1]
	v_add_f64 v[20:21], v[30:31], v[85:86]
	v_add_f64 v[2:3], v[81:82], v[42:43]
	v_add_f64 v[0:1], v[135:136], v[56:57]
	v_add_f64 v[10:11], v[139:140], v[67:68]
	v_add_f64 v[8:9], v[145:146], v[71:72]
	v_add_f64 v[14:15], v[22:23], v[73:74]
	v_add_f64 v[18:19], v[32:33], v[87:88]
	v_add_f64 v[12:13], v[24:25], v[75:76]
	v_add_f64 v[24:25], v[36:37], v[26:27]
	v_add_f64 v[26:27], v[101:102], v[40:41]
	v_add_f64 v[36:37], v[38:39], v[54:55]
	v_add_f64 v[40:41], v[109:110], v[44:45]
	v_add_f64 v[38:39], v[111:112], v[59:60]
	v_add_f64 v[22:23], v[65:66], v[28:29]
	v_add_f64 v[28:29], v[99:100], v[34:35]
	v_add_f64 v[44:45], v[103:104], v[69:70]
	v_add_f64 v[42:43], v[105:106], v[77:78]
	v_add_f64 v[32:33], v[115:116], v[46:47]
	v_add_f64 v[56:57], v[4:5], v[16:17]
	v_add_f64 v[54:55], v[79:80], v[6:7]
	v_add_f64 v[34:35], v[83:84], v[63:64]
	v_add_f64 v[30:31], v[117:118], v[61:62]
	v_and_b32_e32 v4, 0xffff, v51
	v_lshlrev_b32_e32 v5, 4, v58
	s_delay_alu instid0(VALU_DEP_2) | instskip(NEXT) | instid1(VALU_DEP_1)
	v_mul_u32_u24_e32 v4, 0x8f0, v4
	v_add3_u32 v4, 0, v4, v5
	ds_store_b128 v4, v[18:21] offset:832
	ds_store_b128 v4, v[8:11] offset:1040
	ds_store_b128 v4, v[0:3] offset:1248
	ds_store_b128 v4, v[12:15] offset:1456
	ds_store_b128 v4, v[38:41] offset:416
	ds_store_b128 v4, v[26:29] offset:624
	ds_store_b128 v4, v[22:25] offset:1664
	ds_store_b128 v4, v[42:45] offset:1872
	ds_store_b128 v4, v[54:57]
	ds_store_b128 v4, v[34:37] offset:208
	ds_store_b128 v4, v[30:33] offset:2080
.LBB0_19:
	s_or_b32 exec_lo, exec_lo, s33
	v_mul_u32_u24_e32 v0, 9, v50
	s_load_b64 s[2:3], s[2:3], 0x0
	s_waitcnt lgkmcnt(0)
	s_barrier
	buffer_gl0_inv
	v_lshlrev_b32_e32 v32, 4, v0
	s_mov_b32 s10, 0x134454ff
	s_mov_b32 s11, 0xbfee6f0e
	;; [unrolled: 1-line block ×4, first 2 shown]
	s_clause 0x8
	global_load_b128 v[0:3], v32, s[8:9] offset:2112
	global_load_b128 v[4:7], v32, s[8:9] offset:2144
	;; [unrolled: 1-line block ×9, first 2 shown]
	ds_load_b128 v[36:39], v126 offset:6864
	ds_load_b128 v[40:43], v126 offset:11440
	;; [unrolled: 1-line block ×6, first 2 shown]
	s_mov_b32 s14, 0x4755a5e
	s_mov_b32 s15, 0xbfe2cf23
	;; [unrolled: 1-line block ×12, first 2 shown]
	s_waitcnt vmcnt(8) lgkmcnt(5)
	v_mul_f64 v[66:67], v[36:37], v[2:3]
	s_waitcnt vmcnt(7) lgkmcnt(4)
	v_mul_f64 v[68:69], v[40:41], v[6:7]
	s_waitcnt vmcnt(6) lgkmcnt(3)
	v_mul_f64 v[70:71], v[44:45], v[10:11]
	s_waitcnt vmcnt(5) lgkmcnt(2)
	v_mul_f64 v[72:73], v[54:55], v[14:15]
	s_waitcnt vmcnt(4) lgkmcnt(1)
	v_mul_f64 v[78:79], v[58:59], v[18:19]
	v_mul_f64 v[2:3], v[38:39], v[2:3]
	v_mul_f64 v[6:7], v[42:43], v[6:7]
	;; [unrolled: 1-line block ×4, first 2 shown]
	s_waitcnt vmcnt(3) lgkmcnt(0)
	v_mul_f64 v[80:81], v[64:65], v[22:23]
	v_mul_f64 v[22:23], v[62:63], v[22:23]
	;; [unrolled: 1-line block ×3, first 2 shown]
	v_fma_f64 v[38:39], v[38:39], v[0:1], -v[66:67]
	v_fma_f64 v[42:43], v[42:43], v[4:5], -v[68:69]
	;; [unrolled: 1-line block ×4, first 2 shown]
	ds_load_b128 v[66:69], v126 offset:9152
	ds_load_b128 v[70:73], v126 offset:13728
	;; [unrolled: 1-line block ×3, first 2 shown]
	v_fma_f64 v[36:37], v[36:37], v[0:1], v[2:3]
	v_fma_f64 v[4:5], v[40:41], v[4:5], v[6:7]
	;; [unrolled: 1-line block ×4, first 2 shown]
	v_fma_f64 v[10:11], v[60:61], v[16:17], -v[78:79]
	v_fma_f64 v[12:13], v[62:63], v[20:21], v[80:81]
	v_fma_f64 v[14:15], v[64:65], v[20:21], -v[22:23]
	v_fma_f64 v[16:17], v[58:59], v[16:17], v[18:19]
	s_waitcnt vmcnt(2) lgkmcnt(2)
	v_mul_f64 v[82:83], v[68:69], v[26:27]
	v_mul_f64 v[26:27], v[66:67], v[26:27]
	s_waitcnt vmcnt(1) lgkmcnt(1)
	v_mul_f64 v[84:85], v[72:73], v[30:31]
	s_waitcnt vmcnt(0) lgkmcnt(0)
	v_mul_f64 v[86:87], v[76:77], v[34:35]
	v_mul_f64 v[30:31], v[70:71], v[30:31]
	;; [unrolled: 1-line block ×3, first 2 shown]
	v_add_f64 v[0:1], v[42:43], v[46:47]
	v_add_f64 v[2:3], v[38:39], v[56:57]
	v_add_f64 v[90:91], v[36:37], -v[4:5]
	v_add_f64 v[18:19], v[4:5], v[6:7]
	v_add_f64 v[40:41], v[4:5], -v[6:7]
	v_add_f64 v[92:93], v[8:9], -v[6:7]
	;; [unrolled: 1-line block ×3, first 2 shown]
	v_fma_f64 v[20:21], v[66:67], v[24:25], v[82:83]
	v_fma_f64 v[22:23], v[68:69], v[24:25], -v[26:27]
	v_fma_f64 v[24:25], v[70:71], v[28:29], v[84:85]
	v_fma_f64 v[26:27], v[74:75], v[32:33], v[86:87]
	v_fma_f64 v[28:29], v[72:73], v[28:29], -v[30:31]
	v_fma_f64 v[30:31], v[76:77], v[32:33], -v[34:35]
	v_add_f64 v[32:33], v[36:37], v[8:9]
	v_add_f64 v[34:35], v[36:37], -v[8:9]
	v_add_f64 v[66:67], v[38:39], -v[56:57]
	v_add_f64 v[68:69], v[38:39], -v[42:43]
	v_add_f64 v[70:71], v[56:57], -v[46:47]
	v_add_f64 v[72:73], v[42:43], -v[38:39]
	v_add_f64 v[74:75], v[46:47], -v[56:57]
	v_add_f64 v[76:77], v[42:43], -v[46:47]
	v_fma_f64 v[44:45], v[0:1], -0.5, v[10:11]
	v_fma_f64 v[54:55], v[2:3], -0.5, v[10:11]
	ds_load_b128 v[0:3], v126
	v_add_f64 v[10:11], v[10:11], v[38:39]
	s_waitcnt lgkmcnt(0)
	v_fma_f64 v[18:19], v[18:19], -0.5, v[16:17]
	s_barrier
	buffer_gl0_inv
	v_add_f64 v[96:97], v[14:15], -v[22:23]
	v_add_f64 v[58:59], v[20:21], v[24:25]
	v_add_f64 v[60:61], v[12:13], v[26:27]
	;; [unrolled: 1-line block ×4, first 2 shown]
	v_fma_f64 v[32:33], v[32:33], -0.5, v[16:17]
	v_add_f64 v[82:83], v[0:1], v[12:13]
	v_add_f64 v[88:89], v[2:3], v[14:15]
	v_add_f64 v[16:17], v[16:17], v[36:37]
	v_add_f64 v[84:85], v[14:15], -v[30:31]
	v_add_f64 v[36:37], v[4:5], -v[36:37]
	;; [unrolled: 1-line block ×6, first 2 shown]
	v_fma_f64 v[78:79], v[34:35], s[0:1], v[44:45]
	v_fma_f64 v[80:81], v[40:41], s[10:11], v[54:55]
	;; [unrolled: 1-line block ×4, first 2 shown]
	v_add_f64 v[10:11], v[10:11], v[42:43]
	v_fma_f64 v[38:39], v[58:59], -0.5, v[0:1]
	v_add_f64 v[58:59], v[12:13], -v[26:27]
	v_fma_f64 v[0:1], v[60:61], -0.5, v[0:1]
	v_add_f64 v[60:61], v[20:21], -v[24:25]
	v_fma_f64 v[62:63], v[62:63], -0.5, v[2:3]
	v_fma_f64 v[2:3], v[64:65], -0.5, v[2:3]
	v_add_f64 v[64:65], v[68:69], v[70:71]
	v_add_f64 v[68:69], v[72:73], v[74:75]
	v_fma_f64 v[70:71], v[66:67], s[10:11], v[18:19]
	v_fma_f64 v[18:19], v[66:67], s[0:1], v[18:19]
	;; [unrolled: 1-line block ×4, first 2 shown]
	v_add_f64 v[22:23], v[88:89], v[22:23]
	v_add_f64 v[4:5], v[16:17], v[4:5]
	;; [unrolled: 1-line block ×4, first 2 shown]
	v_fma_f64 v[74:75], v[40:41], s[4:5], v[78:79]
	v_fma_f64 v[78:79], v[34:35], s[4:5], v[80:81]
	;; [unrolled: 1-line block ×4, first 2 shown]
	v_add_f64 v[44:45], v[12:13], -v[20:21]
	v_add_f64 v[12:13], v[20:21], -v[12:13]
	v_add_f64 v[20:21], v[82:83], v[20:21]
	v_add_f64 v[54:55], v[26:27], -v[24:25]
	v_add_f64 v[80:81], v[24:25], -v[26:27]
	v_add_f64 v[14:15], v[14:15], v[100:101]
	v_fma_f64 v[42:43], v[84:85], s[10:11], v[38:39]
	v_fma_f64 v[38:39], v[84:85], s[0:1], v[38:39]
	;; [unrolled: 1-line block ×12, first 2 shown]
	v_add_f64 v[22:23], v[22:23], v[28:29]
	v_add_f64 v[4:5], v[4:5], v[6:7]
	;; [unrolled: 1-line block ×3, first 2 shown]
	v_fma_f64 v[66:67], v[64:65], s[12:13], v[74:75]
	v_fma_f64 v[74:75], v[68:69], s[12:13], v[78:79]
	;; [unrolled: 1-line block ×4, first 2 shown]
	v_add_f64 v[20:21], v[20:21], v[24:25]
	v_add_f64 v[44:45], v[44:45], v[54:55]
	;; [unrolled: 1-line block ×4, first 2 shown]
	v_fma_f64 v[10:11], v[86:87], s[14:15], v[42:43]
	v_fma_f64 v[24:25], v[86:87], s[4:5], v[38:39]
	;; [unrolled: 1-line block ×12, first 2 shown]
	v_add_f64 v[22:23], v[22:23], v[30:31]
	v_add_f64 v[4:5], v[4:5], v[8:9]
	;; [unrolled: 1-line block ×3, first 2 shown]
	v_mul_f64 v[36:37], v[66:67], s[14:15]
	v_mul_f64 v[66:67], v[66:67], s[16:17]
	v_mul_f64 v[60:61], v[74:75], s[10:11]
	v_mul_f64 v[62:63], v[34:35], s[10:11]
	v_mul_f64 v[68:69], v[74:75], s[12:13]
	v_mul_f64 v[34:35], v[34:35], s[18:19]
	v_mul_f64 v[64:65], v[40:41], s[14:15]
	v_mul_f64 v[40:41], v[40:41], s[20:21]
	v_add_f64 v[20:21], v[20:21], v[26:27]
	v_fma_f64 v[26:27], v[44:45], s[12:13], v[10:11]
	v_fma_f64 v[30:31], v[44:45], s[12:13], v[24:25]
	;; [unrolled: 1-line block ×8, first 2 shown]
	v_add_f64 v[2:3], v[22:23], v[6:7]
	v_add_f64 v[6:7], v[22:23], -v[6:7]
	v_fma_f64 v[24:25], v[58:59], s[16:17], v[36:37]
	v_fma_f64 v[58:59], v[58:59], s[4:5], v[66:67]
	;; [unrolled: 1-line block ×8, first 2 shown]
	v_add_f64 v[0:1], v[20:21], v[4:5]
	v_add_f64 v[4:5], v[20:21], -v[4:5]
	s_add_u32 s1, s8, 0x5890
	s_addc_u32 s4, s9, 0
	s_mov_b32 s5, exec_lo
	v_add_f64 v[8:9], v[26:27], v[24:25]
	v_add_f64 v[10:11], v[38:39], v[58:59]
	;; [unrolled: 1-line block ×8, first 2 shown]
	v_add_f64 v[24:25], v[26:27], -v[24:25]
	v_add_f64 v[26:27], v[38:39], -v[58:59]
	;; [unrolled: 1-line block ×8, first 2 shown]
	ds_store_b128 v126, v[0:3]
	ds_store_b128 v126, v[8:11] offset:2288
	ds_store_b128 v126, v[12:15] offset:4576
	;; [unrolled: 1-line block ×9, first 2 shown]
	s_waitcnt lgkmcnt(0)
	s_barrier
	buffer_gl0_inv
	ds_load_b128 v[4:7], v126
	v_lshlrev_b32_e32 v0, 4, v50
                                        ; implicit-def: $vgpr8_vgpr9
                                        ; implicit-def: $vgpr10_vgpr11
                                        ; implicit-def: $vgpr12_vgpr13
	s_delay_alu instid0(VALU_DEP_1)
	v_sub_nc_u32_e32 v14, 0, v0
                                        ; implicit-def: $vgpr0_vgpr1
	v_cmpx_ne_u32_e32 0, v50
	s_xor_b32 s5, exec_lo, s5
	s_cbranch_execz .LBB0_21
; %bb.20:
	v_mov_b32_e32 v51, 0
	s_delay_alu instid0(VALU_DEP_1) | instskip(NEXT) | instid1(VALU_DEP_1)
	v_lshlrev_b64 v[0:1], 4, v[50:51]
	v_add_co_u32 v0, s0, s1, v0
	s_delay_alu instid0(VALU_DEP_1)
	v_add_co_ci_u32_e64 v1, s0, s4, v1, s0
	global_load_b128 v[15:18], v[0:1], off
	ds_load_b128 v[0:3], v14 offset:22880
	s_waitcnt lgkmcnt(0)
	v_add_f64 v[8:9], v[4:5], -v[0:1]
	v_add_f64 v[10:11], v[6:7], v[2:3]
	v_add_f64 v[2:3], v[6:7], -v[2:3]
	v_add_f64 v[0:1], v[4:5], v[0:1]
	s_delay_alu instid0(VALU_DEP_4) | instskip(NEXT) | instid1(VALU_DEP_4)
	v_mul_f64 v[6:7], v[8:9], 0.5
	v_mul_f64 v[4:5], v[10:11], 0.5
	s_delay_alu instid0(VALU_DEP_4) | instskip(SKIP_1) | instid1(VALU_DEP_3)
	v_mul_f64 v[2:3], v[2:3], 0.5
	s_waitcnt vmcnt(0)
	v_mul_f64 v[8:9], v[6:7], v[17:18]
	s_delay_alu instid0(VALU_DEP_2) | instskip(SKIP_1) | instid1(VALU_DEP_3)
	v_fma_f64 v[10:11], v[4:5], v[17:18], v[2:3]
	v_fma_f64 v[2:3], v[4:5], v[17:18], -v[2:3]
	v_fma_f64 v[12:13], v[0:1], 0.5, v[8:9]
	v_fma_f64 v[0:1], v[0:1], 0.5, -v[8:9]
	s_delay_alu instid0(VALU_DEP_4) | instskip(NEXT) | instid1(VALU_DEP_4)
	v_fma_f64 v[10:11], -v[15:16], v[6:7], v[10:11]
	v_fma_f64 v[2:3], -v[15:16], v[6:7], v[2:3]
	s_delay_alu instid0(VALU_DEP_4) | instskip(NEXT) | instid1(VALU_DEP_4)
	v_fma_f64 v[8:9], v[4:5], v[15:16], v[12:13]
	v_fma_f64 v[0:1], -v[4:5], v[15:16], v[0:1]
	v_dual_mov_b32 v12, v50 :: v_dual_mov_b32 v13, v51
                                        ; implicit-def: $vgpr4_vgpr5
.LBB0_21:
	s_and_not1_saveexec_b32 s0, s5
	s_cbranch_execz .LBB0_23
; %bb.22:
	s_waitcnt lgkmcnt(0)
	v_add_f64 v[8:9], v[4:5], v[6:7]
	v_add_f64 v[0:1], v[4:5], -v[6:7]
	v_mov_b32_e32 v6, 0
	v_mov_b32_e32 v10, 0
	v_dual_mov_b32 v11, 0 :: v_dual_mov_b32 v12, 0
	s_delay_alu instid0(VALU_DEP_2)
	v_mov_b32_e32 v2, v10
	ds_load_b64 v[4:5], v6 offset:11448
	v_mov_b32_e32 v13, 0
	v_mov_b32_e32 v3, v11
	s_waitcnt lgkmcnt(0)
	v_xor_b32_e32 v5, 0x80000000, v5
	ds_store_b64 v6, v[4:5] offset:11448
.LBB0_23:
	s_or_b32 exec_lo, exec_lo, s0
	s_waitcnt lgkmcnt(0)
	v_lshlrev_b64 v[4:5], 4, v[12:13]
	s_delay_alu instid0(VALU_DEP_1) | instskip(NEXT) | instid1(VALU_DEP_1)
	v_add_co_u32 v12, s0, s1, v4
	v_add_co_ci_u32_e64 v13, s0, s4, v5, s0
	s_delay_alu instid0(VALU_DEP_2)
	v_add_co_u32 v19, s0, 0x1000, v12
	global_load_b128 v[4:7], v[12:13], off offset:2288
	v_add_co_ci_u32_e64 v20, s0, 0, v13, s0
	global_load_b128 v[15:18], v[19:20], off offset:480
	ds_store_2addr_b64 v126, v[8:9], v[10:11] offset1:1
	ds_store_b128 v14, v[0:3] offset:22880
	ds_load_b128 v[0:3], v126 offset:2288
	ds_load_b128 v[8:11], v14 offset:20592
	s_waitcnt lgkmcnt(0)
	v_add_f64 v[21:22], v[0:1], -v[8:9]
	v_add_f64 v[23:24], v[2:3], v[10:11]
	v_add_f64 v[2:3], v[2:3], -v[10:11]
	v_add_f64 v[0:1], v[0:1], v[8:9]
	s_delay_alu instid0(VALU_DEP_4) | instskip(NEXT) | instid1(VALU_DEP_4)
	v_mul_f64 v[10:11], v[21:22], 0.5
	v_mul_f64 v[21:22], v[23:24], 0.5
	s_delay_alu instid0(VALU_DEP_4) | instskip(SKIP_1) | instid1(VALU_DEP_3)
	v_mul_f64 v[2:3], v[2:3], 0.5
	s_waitcnt vmcnt(1)
	v_mul_f64 v[8:9], v[10:11], v[6:7]
	s_delay_alu instid0(VALU_DEP_2) | instskip(SKIP_1) | instid1(VALU_DEP_3)
	v_fma_f64 v[23:24], v[21:22], v[6:7], v[2:3]
	v_fma_f64 v[2:3], v[21:22], v[6:7], -v[2:3]
	v_fma_f64 v[6:7], v[0:1], 0.5, v[8:9]
	v_fma_f64 v[0:1], v[0:1], 0.5, -v[8:9]
	s_delay_alu instid0(VALU_DEP_4) | instskip(NEXT) | instid1(VALU_DEP_4)
	v_fma_f64 v[8:9], -v[4:5], v[10:11], v[23:24]
	v_fma_f64 v[2:3], -v[4:5], v[10:11], v[2:3]
	s_delay_alu instid0(VALU_DEP_4) | instskip(NEXT) | instid1(VALU_DEP_4)
	v_fma_f64 v[10:11], v[21:22], v[4:5], v[6:7]
	v_fma_f64 v[0:1], -v[21:22], v[4:5], v[0:1]
	global_load_b128 v[4:7], v[19:20], off offset:2768
	v_add_nc_u32_e32 v19, 0x800, v126
	ds_store_2addr_b64 v19, v[10:11], v[8:9] offset0:30 offset1:31
	ds_store_b128 v14, v[0:3] offset:20592
	ds_load_b128 v[0:3], v126 offset:4576
	ds_load_b128 v[8:11], v14 offset:18304
	s_waitcnt lgkmcnt(0)
	v_add_f64 v[19:20], v[0:1], -v[8:9]
	v_add_f64 v[21:22], v[2:3], v[10:11]
	v_add_f64 v[2:3], v[2:3], -v[10:11]
	v_add_f64 v[0:1], v[0:1], v[8:9]
	s_delay_alu instid0(VALU_DEP_4) | instskip(NEXT) | instid1(VALU_DEP_4)
	v_mul_f64 v[10:11], v[19:20], 0.5
	v_mul_f64 v[19:20], v[21:22], 0.5
	s_delay_alu instid0(VALU_DEP_4) | instskip(SKIP_1) | instid1(VALU_DEP_3)
	v_mul_f64 v[2:3], v[2:3], 0.5
	s_waitcnt vmcnt(1)
	v_mul_f64 v[8:9], v[10:11], v[17:18]
	s_delay_alu instid0(VALU_DEP_2) | instskip(SKIP_1) | instid1(VALU_DEP_3)
	v_fma_f64 v[21:22], v[19:20], v[17:18], v[2:3]
	v_fma_f64 v[2:3], v[19:20], v[17:18], -v[2:3]
	v_fma_f64 v[17:18], v[0:1], 0.5, v[8:9]
	v_fma_f64 v[0:1], v[0:1], 0.5, -v[8:9]
	s_delay_alu instid0(VALU_DEP_4) | instskip(NEXT) | instid1(VALU_DEP_4)
	v_fma_f64 v[21:22], -v[15:16], v[10:11], v[21:22]
	v_fma_f64 v[2:3], -v[15:16], v[10:11], v[2:3]
	v_add_co_u32 v8, s0, 0x2000, v12
	s_delay_alu instid0(VALU_DEP_1)
	v_add_co_ci_u32_e64 v9, s0, 0, v13, s0
	v_add_nc_u32_e32 v12, 0x1000, v126
	global_load_b128 v[8:11], v[8:9], off offset:960
	v_fma_f64 v[17:18], v[19:20], v[15:16], v[17:18]
	v_fma_f64 v[0:1], -v[19:20], v[15:16], v[0:1]
	ds_store_2addr_b64 v12, v[17:18], v[21:22] offset0:60 offset1:61
	ds_store_b128 v14, v[0:3] offset:18304
	ds_load_b128 v[0:3], v126 offset:6864
	ds_load_b128 v[15:18], v14 offset:16016
	s_waitcnt lgkmcnt(0)
	v_add_f64 v[12:13], v[0:1], -v[15:16]
	v_add_f64 v[19:20], v[2:3], v[17:18]
	v_add_f64 v[2:3], v[2:3], -v[17:18]
	v_add_f64 v[0:1], v[0:1], v[15:16]
	s_delay_alu instid0(VALU_DEP_4) | instskip(NEXT) | instid1(VALU_DEP_4)
	v_mul_f64 v[12:13], v[12:13], 0.5
	v_mul_f64 v[17:18], v[19:20], 0.5
	s_delay_alu instid0(VALU_DEP_4) | instskip(SKIP_1) | instid1(VALU_DEP_3)
	v_mul_f64 v[2:3], v[2:3], 0.5
	s_waitcnt vmcnt(1)
	v_mul_f64 v[15:16], v[12:13], v[6:7]
	s_delay_alu instid0(VALU_DEP_2) | instskip(SKIP_1) | instid1(VALU_DEP_3)
	v_fma_f64 v[19:20], v[17:18], v[6:7], v[2:3]
	v_fma_f64 v[2:3], v[17:18], v[6:7], -v[2:3]
	v_fma_f64 v[6:7], v[0:1], 0.5, v[15:16]
	v_fma_f64 v[0:1], v[0:1], 0.5, -v[15:16]
	s_delay_alu instid0(VALU_DEP_4) | instskip(NEXT) | instid1(VALU_DEP_4)
	v_fma_f64 v[15:16], -v[4:5], v[12:13], v[19:20]
	v_fma_f64 v[2:3], -v[4:5], v[12:13], v[2:3]
	s_delay_alu instid0(VALU_DEP_4) | instskip(NEXT) | instid1(VALU_DEP_4)
	v_fma_f64 v[6:7], v[17:18], v[4:5], v[6:7]
	v_fma_f64 v[0:1], -v[17:18], v[4:5], v[0:1]
	v_add_nc_u32_e32 v4, 0x1800, v126
	ds_store_2addr_b64 v4, v[6:7], v[15:16] offset0:90 offset1:91
	ds_store_b128 v14, v[0:3] offset:16016
	ds_load_b128 v[0:3], v126 offset:9152
	ds_load_b128 v[4:7], v14 offset:13728
	s_waitcnt lgkmcnt(0)
	v_add_f64 v[12:13], v[0:1], -v[4:5]
	v_add_f64 v[15:16], v[2:3], v[6:7]
	v_add_f64 v[2:3], v[2:3], -v[6:7]
	v_add_f64 v[0:1], v[0:1], v[4:5]
	s_delay_alu instid0(VALU_DEP_4) | instskip(NEXT) | instid1(VALU_DEP_4)
	v_mul_f64 v[6:7], v[12:13], 0.5
	v_mul_f64 v[12:13], v[15:16], 0.5
	s_delay_alu instid0(VALU_DEP_4) | instskip(SKIP_1) | instid1(VALU_DEP_3)
	v_mul_f64 v[2:3], v[2:3], 0.5
	s_waitcnt vmcnt(0)
	v_mul_f64 v[4:5], v[6:7], v[10:11]
	s_delay_alu instid0(VALU_DEP_2) | instskip(SKIP_1) | instid1(VALU_DEP_3)
	v_fma_f64 v[15:16], v[12:13], v[10:11], v[2:3]
	v_fma_f64 v[2:3], v[12:13], v[10:11], -v[2:3]
	v_fma_f64 v[10:11], v[0:1], 0.5, v[4:5]
	v_fma_f64 v[0:1], v[0:1], 0.5, -v[4:5]
	s_delay_alu instid0(VALU_DEP_4) | instskip(NEXT) | instid1(VALU_DEP_4)
	v_fma_f64 v[4:5], -v[8:9], v[6:7], v[15:16]
	v_fma_f64 v[2:3], -v[8:9], v[6:7], v[2:3]
	s_delay_alu instid0(VALU_DEP_4) | instskip(NEXT) | instid1(VALU_DEP_4)
	v_fma_f64 v[6:7], v[12:13], v[8:9], v[10:11]
	v_fma_f64 v[0:1], -v[12:13], v[8:9], v[0:1]
	v_add_nc_u32_e32 v8, 0x2000, v126
	ds_store_2addr_b64 v8, v[6:7], v[4:5] offset0:120 offset1:121
	ds_store_b128 v14, v[0:3] offset:13728
	s_waitcnt lgkmcnt(0)
	s_barrier
	buffer_gl0_inv
	s_and_saveexec_b32 s0, vcc_lo
	s_cbranch_execz .LBB0_26
; %bb.24:
	v_mul_lo_u32 v2, s3, v52
	v_mul_lo_u32 v3, s2, v53
	v_mad_u64_u32 v[0:1], null, s2, v52, 0
	v_lshl_add_u32 v28, v50, 4, 0
	v_dual_mov_b32 v51, 0 :: v_dual_add_nc_u32 v12, 0x8f, v50
	v_lshlrev_b64 v[10:11], 4, v[48:49]
	v_add_nc_u32_e32 v26, 0x35a, v50
	v_add_nc_u32_e32 v24, 0x2cb, v50
	v_add3_u32 v1, v1, v3, v2
	ds_load_b128 v[2:5], v28
	ds_load_b128 v[6:9], v28 offset:2288
	v_mov_b32_e32 v13, v51
	v_lshlrev_b64 v[14:15], 4, v[50:51]
	v_mov_b32_e32 v25, v51
	v_lshlrev_b64 v[0:1], 4, v[0:1]
	v_mov_b32_e32 v27, v51
	s_delay_alu instid0(VALU_DEP_3) | instskip(NEXT) | instid1(VALU_DEP_3)
	v_lshlrev_b64 v[24:25], 4, v[24:25]
	v_add_co_u32 v0, vcc_lo, s6, v0
	s_delay_alu instid0(VALU_DEP_4) | instskip(NEXT) | instid1(VALU_DEP_2)
	v_add_co_ci_u32_e32 v1, vcc_lo, s7, v1, vcc_lo
	v_add_co_u32 v0, vcc_lo, v0, v10
	s_delay_alu instid0(VALU_DEP_2) | instskip(SKIP_1) | instid1(VALU_DEP_3)
	v_add_co_ci_u32_e32 v1, vcc_lo, v1, v11, vcc_lo
	v_lshlrev_b64 v[10:11], 4, v[12:13]
	v_add_co_u32 v12, vcc_lo, v0, v14
	s_delay_alu instid0(VALU_DEP_3) | instskip(SKIP_1) | instid1(VALU_DEP_4)
	v_add_co_ci_u32_e32 v13, vcc_lo, v1, v15, vcc_lo
	v_add_nc_u32_e32 v14, 0x11e, v50
	v_add_co_u32 v10, vcc_lo, v0, v10
	v_mov_b32_e32 v15, v51
	v_add_co_ci_u32_e32 v11, vcc_lo, v1, v11, vcc_lo
	s_waitcnt lgkmcnt(1)
	global_store_b128 v[12:13], v[2:5], off
	s_waitcnt lgkmcnt(0)
	global_store_b128 v[10:11], v[6:9], off
	v_add_nc_u32_e32 v10, 0x1ad, v50
	v_lshlrev_b64 v[2:3], 4, v[14:15]
	v_dual_mov_b32 v11, v51 :: v_dual_add_nc_u32 v12, 0x23c, v50
	v_mov_b32_e32 v13, v51
	s_delay_alu instid0(VALU_DEP_3) | instskip(NEXT) | instid1(VALU_DEP_4)
	v_add_co_u32 v18, vcc_lo, v0, v2
	v_add_co_ci_u32_e32 v19, vcc_lo, v1, v3, vcc_lo
	ds_load_b128 v[2:5], v28 offset:4576
	ds_load_b128 v[6:9], v28 offset:6864
	v_lshlrev_b64 v[20:21], 4, v[10:11]
	v_lshlrev_b64 v[22:23], 4, v[12:13]
	ds_load_b128 v[10:13], v28 offset:9152
	ds_load_b128 v[14:17], v28 offset:11440
	v_add_co_u32 v20, vcc_lo, v0, v20
	v_add_co_ci_u32_e32 v21, vcc_lo, v1, v21, vcc_lo
	v_add_co_u32 v22, vcc_lo, v0, v22
	v_add_co_ci_u32_e32 v23, vcc_lo, v1, v23, vcc_lo
	;; [unrolled: 2-line block ×3, first 2 shown]
	s_waitcnt lgkmcnt(3)
	global_store_b128 v[18:19], v[2:5], off
	s_waitcnt lgkmcnt(2)
	global_store_b128 v[20:21], v[6:9], off
	;; [unrolled: 2-line block ×4, first 2 shown]
	v_add_nc_u32_e32 v10, 0x3e9, v50
	v_lshlrev_b64 v[2:3], 4, v[26:27]
	v_dual_mov_b32 v11, v51 :: v_dual_add_nc_u32 v12, 0x478, v50
	v_dual_mov_b32 v13, v51 :: v_dual_add_nc_u32 v24, 0x507, v50
	v_mov_b32_e32 v25, v51
	s_delay_alu instid0(VALU_DEP_4)
	v_add_co_u32 v18, vcc_lo, v0, v2
	v_add_co_ci_u32_e32 v19, vcc_lo, v1, v3, vcc_lo
	ds_load_b128 v[2:5], v28 offset:13728
	ds_load_b128 v[6:9], v28 offset:16016
	v_lshlrev_b64 v[20:21], 4, v[10:11]
	v_lshlrev_b64 v[22:23], 4, v[12:13]
	ds_load_b128 v[10:13], v28 offset:18304
	ds_load_b128 v[14:17], v28 offset:20592
	v_lshlrev_b64 v[24:25], 4, v[24:25]
	v_add_co_u32 v20, vcc_lo, v0, v20
	v_add_co_ci_u32_e32 v21, vcc_lo, v1, v21, vcc_lo
	v_add_co_u32 v22, vcc_lo, v0, v22
	v_add_co_ci_u32_e32 v23, vcc_lo, v1, v23, vcc_lo
	;; [unrolled: 2-line block ×3, first 2 shown]
	v_cmp_eq_u32_e32 vcc_lo, 0x8e, v50
	s_waitcnt lgkmcnt(3)
	global_store_b128 v[18:19], v[2:5], off
	s_waitcnt lgkmcnt(2)
	global_store_b128 v[20:21], v[6:9], off
	;; [unrolled: 2-line block ×4, first 2 shown]
	s_and_b32 exec_lo, exec_lo, vcc_lo
	s_cbranch_execz .LBB0_26
; %bb.25:
	ds_load_b128 v[2:5], v51 offset:22880
	v_add_co_u32 v0, vcc_lo, 0x5000, v0
	v_add_co_ci_u32_e32 v1, vcc_lo, 0, v1, vcc_lo
	s_waitcnt lgkmcnt(0)
	global_store_b128 v[0:1], v[2:5], off offset:2400
.LBB0_26:
	s_nop 0
	s_sendmsg sendmsg(MSG_DEALLOC_VGPRS)
	s_endpgm
	.section	.rodata,"a",@progbits
	.p2align	6, 0x0
	.amdhsa_kernel fft_rtc_back_len1430_factors_13_11_10_wgs_143_tpt_143_dp_op_CI_CI_unitstride_sbrr_R2C_dirReg
		.amdhsa_group_segment_fixed_size 0
		.amdhsa_private_segment_fixed_size 0
		.amdhsa_kernarg_size 104
		.amdhsa_user_sgpr_count 15
		.amdhsa_user_sgpr_dispatch_ptr 0
		.amdhsa_user_sgpr_queue_ptr 0
		.amdhsa_user_sgpr_kernarg_segment_ptr 1
		.amdhsa_user_sgpr_dispatch_id 0
		.amdhsa_user_sgpr_private_segment_size 0
		.amdhsa_wavefront_size32 1
		.amdhsa_uses_dynamic_stack 0
		.amdhsa_enable_private_segment 0
		.amdhsa_system_sgpr_workgroup_id_x 1
		.amdhsa_system_sgpr_workgroup_id_y 0
		.amdhsa_system_sgpr_workgroup_id_z 0
		.amdhsa_system_sgpr_workgroup_info 0
		.amdhsa_system_vgpr_workitem_id 0
		.amdhsa_next_free_vgpr 221
		.amdhsa_next_free_sgpr 44
		.amdhsa_reserve_vcc 1
		.amdhsa_float_round_mode_32 0
		.amdhsa_float_round_mode_16_64 0
		.amdhsa_float_denorm_mode_32 3
		.amdhsa_float_denorm_mode_16_64 3
		.amdhsa_dx10_clamp 1
		.amdhsa_ieee_mode 1
		.amdhsa_fp16_overflow 0
		.amdhsa_workgroup_processor_mode 1
		.amdhsa_memory_ordered 1
		.amdhsa_forward_progress 0
		.amdhsa_shared_vgpr_count 0
		.amdhsa_exception_fp_ieee_invalid_op 0
		.amdhsa_exception_fp_denorm_src 0
		.amdhsa_exception_fp_ieee_div_zero 0
		.amdhsa_exception_fp_ieee_overflow 0
		.amdhsa_exception_fp_ieee_underflow 0
		.amdhsa_exception_fp_ieee_inexact 0
		.amdhsa_exception_int_div_zero 0
	.end_amdhsa_kernel
	.text
.Lfunc_end0:
	.size	fft_rtc_back_len1430_factors_13_11_10_wgs_143_tpt_143_dp_op_CI_CI_unitstride_sbrr_R2C_dirReg, .Lfunc_end0-fft_rtc_back_len1430_factors_13_11_10_wgs_143_tpt_143_dp_op_CI_CI_unitstride_sbrr_R2C_dirReg
                                        ; -- End function
	.section	.AMDGPU.csdata,"",@progbits
; Kernel info:
; codeLenInByte = 13092
; NumSgprs: 46
; NumVgprs: 221
; ScratchSize: 0
; MemoryBound: 0
; FloatMode: 240
; IeeeMode: 1
; LDSByteSize: 0 bytes/workgroup (compile time only)
; SGPRBlocks: 5
; VGPRBlocks: 27
; NumSGPRsForWavesPerEU: 46
; NumVGPRsForWavesPerEU: 221
; Occupancy: 6
; WaveLimiterHint : 1
; COMPUTE_PGM_RSRC2:SCRATCH_EN: 0
; COMPUTE_PGM_RSRC2:USER_SGPR: 15
; COMPUTE_PGM_RSRC2:TRAP_HANDLER: 0
; COMPUTE_PGM_RSRC2:TGID_X_EN: 1
; COMPUTE_PGM_RSRC2:TGID_Y_EN: 0
; COMPUTE_PGM_RSRC2:TGID_Z_EN: 0
; COMPUTE_PGM_RSRC2:TIDIG_COMP_CNT: 0
	.text
	.p2alignl 7, 3214868480
	.fill 96, 4, 3214868480
	.type	__hip_cuid_afff7769b3c3f251,@object ; @__hip_cuid_afff7769b3c3f251
	.section	.bss,"aw",@nobits
	.globl	__hip_cuid_afff7769b3c3f251
__hip_cuid_afff7769b3c3f251:
	.byte	0                               ; 0x0
	.size	__hip_cuid_afff7769b3c3f251, 1

	.ident	"AMD clang version 19.0.0git (https://github.com/RadeonOpenCompute/llvm-project roc-6.4.0 25133 c7fe45cf4b819c5991fe208aaa96edf142730f1d)"
	.section	".note.GNU-stack","",@progbits
	.addrsig
	.addrsig_sym __hip_cuid_afff7769b3c3f251
	.amdgpu_metadata
---
amdhsa.kernels:
  - .args:
      - .actual_access:  read_only
        .address_space:  global
        .offset:         0
        .size:           8
        .value_kind:     global_buffer
      - .offset:         8
        .size:           8
        .value_kind:     by_value
      - .actual_access:  read_only
        .address_space:  global
        .offset:         16
        .size:           8
        .value_kind:     global_buffer
      - .actual_access:  read_only
        .address_space:  global
        .offset:         24
        .size:           8
        .value_kind:     global_buffer
      - .actual_access:  read_only
        .address_space:  global
        .offset:         32
        .size:           8
        .value_kind:     global_buffer
      - .offset:         40
        .size:           8
        .value_kind:     by_value
      - .actual_access:  read_only
        .address_space:  global
        .offset:         48
        .size:           8
        .value_kind:     global_buffer
      - .actual_access:  read_only
        .address_space:  global
        .offset:         56
        .size:           8
        .value_kind:     global_buffer
      - .offset:         64
        .size:           4
        .value_kind:     by_value
      - .actual_access:  read_only
        .address_space:  global
        .offset:         72
        .size:           8
        .value_kind:     global_buffer
      - .actual_access:  read_only
        .address_space:  global
        .offset:         80
        .size:           8
        .value_kind:     global_buffer
      - .actual_access:  read_only
        .address_space:  global
        .offset:         88
        .size:           8
        .value_kind:     global_buffer
      - .actual_access:  write_only
        .address_space:  global
        .offset:         96
        .size:           8
        .value_kind:     global_buffer
    .group_segment_fixed_size: 0
    .kernarg_segment_align: 8
    .kernarg_segment_size: 104
    .language:       OpenCL C
    .language_version:
      - 2
      - 0
    .max_flat_workgroup_size: 143
    .name:           fft_rtc_back_len1430_factors_13_11_10_wgs_143_tpt_143_dp_op_CI_CI_unitstride_sbrr_R2C_dirReg
    .private_segment_fixed_size: 0
    .sgpr_count:     46
    .sgpr_spill_count: 0
    .symbol:         fft_rtc_back_len1430_factors_13_11_10_wgs_143_tpt_143_dp_op_CI_CI_unitstride_sbrr_R2C_dirReg.kd
    .uniform_work_group_size: 1
    .uses_dynamic_stack: false
    .vgpr_count:     221
    .vgpr_spill_count: 0
    .wavefront_size: 32
    .workgroup_processor_mode: 1
amdhsa.target:   amdgcn-amd-amdhsa--gfx1100
amdhsa.version:
  - 1
  - 2
...

	.end_amdgpu_metadata
